;; amdgpu-corpus repo=ROCm/rocFFT kind=compiled arch=gfx906 opt=O3
	.text
	.amdgcn_target "amdgcn-amd-amdhsa--gfx906"
	.amdhsa_code_object_version 6
	.protected	bluestein_single_back_len1156_dim1_sp_op_CI_CI ; -- Begin function bluestein_single_back_len1156_dim1_sp_op_CI_CI
	.globl	bluestein_single_back_len1156_dim1_sp_op_CI_CI
	.p2align	8
	.type	bluestein_single_back_len1156_dim1_sp_op_CI_CI,@function
bluestein_single_back_len1156_dim1_sp_op_CI_CI: ; @bluestein_single_back_len1156_dim1_sp_op_CI_CI
; %bb.0:
	v_mul_u32_u24_e32 v1, 0x3c4, v0
	s_load_dwordx4 s[0:3], s[4:5], 0x28
	v_lshrrev_b32_e32 v1, 16, v1
	v_mad_u64_u32 v[80:81], s[6:7], s6, 3, v[1:2]
	v_mov_b32_e32 v81, 0
	s_waitcnt lgkmcnt(0)
	v_cmp_gt_u64_e32 vcc, s[0:1], v[80:81]
	s_and_saveexec_b64 s[0:1], vcc
	s_cbranch_execz .LBB0_18
; %bb.1:
	s_load_dwordx4 s[20:23], s[4:5], 0x18
	s_load_dwordx4 s[8:11], s[4:5], 0x0
	s_load_dwordx2 s[16:17], s[4:5], 0x38
	v_mul_lo_u16_e32 v1, 0x44, v1
	s_mov_b32 s0, 0xaaaaaaab
	s_waitcnt lgkmcnt(0)
	s_load_dwordx4 s[12:15], s[20:21], 0x0
	v_sub_u16_e32 v142, v0, v1
	v_mul_hi_u32 v7, v80, s0
	v_lshlrev_b32_e32 v119, 3, v142
	s_load_dwordx4 s[4:7], s[22:23], 0x0
	s_waitcnt lgkmcnt(0)
	v_mad_u64_u32 v[0:1], s[0:1], s14, v80, 0
	v_mad_u64_u32 v[2:3], s[0:1], s12, v142, 0
	s_mov_b32 s14, 0xbf1a4643
	s_mov_b32 s18, 0xbf7ba420
	v_mad_u64_u32 v[4:5], s[0:1], s15, v80, v[1:2]
	v_mov_b32_e32 v1, v3
	v_mad_u64_u32 v[5:6], s[0:1], s13, v142, v[1:2]
	v_lshrrev_b32_e32 v1, 1, v7
	v_lshl_add_u32 v16, v1, 1, v1
	v_mov_b32_e32 v1, v4
	v_lshlrev_b64 v[0:1], 3, v[0:1]
	v_mov_b32_e32 v3, v5
	v_mov_b32_e32 v4, s3
	v_add_co_u32_e32 v5, vcc, s2, v0
	v_addc_co_u32_e32 v4, vcc, v4, v1, vcc
	v_lshlrev_b64 v[0:1], 3, v[2:3]
	v_mov_b32_e32 v2, s9
	v_add_co_u32_e32 v0, vcc, v5, v0
	v_add_co_u32_e64 v144, s[2:3], s8, v119
	s_mul_i32 s0, s13, 0x220
	s_mul_hi_u32 s1, s12, 0x220
	v_addc_co_u32_e32 v1, vcc, v4, v1, vcc
	v_addc_co_u32_e64 v37, vcc, 0, v2, s[2:3]
	s_add_i32 s0, s1, s0
	s_mul_i32 s1, s12, 0x220
	v_mov_b32_e32 v3, s0
	v_add_co_u32_e32 v2, vcc, s1, v0
	v_addc_co_u32_e32 v3, vcc, v1, v3, vcc
	v_mov_b32_e32 v5, s0
	v_add_co_u32_e32 v4, vcc, s1, v2
	v_addc_co_u32_e32 v5, vcc, v3, v5, vcc
	;; [unrolled: 3-line block ×3, first 2 shown]
	global_load_dwordx2 v[8:9], v[0:1], off
	global_load_dwordx2 v[10:11], v[2:3], off
	;; [unrolled: 1-line block ×4, first 2 shown]
	global_load_dwordx2 v[97:98], v119, s[8:9]
	global_load_dwordx2 v[95:96], v119, s[8:9] offset:544
	global_load_dwordx2 v[91:92], v119, s[8:9] offset:1088
	;; [unrolled: 1-line block ×3, first 2 shown]
	v_mov_b32_e32 v1, s0
	v_add_co_u32_e32 v0, vcc, s1, v6
	v_addc_co_u32_e32 v1, vcc, v7, v1, vcc
	global_load_dwordx2 v[2:3], v[0:1], off
	v_mov_b32_e32 v4, s0
	v_add_co_u32_e32 v0, vcc, s1, v0
	v_addc_co_u32_e32 v1, vcc, v1, v4, vcc
	global_load_dwordx2 v[4:5], v[0:1], off
	;; [unrolled: 4-line block ×4, first 2 shown]
	global_load_dwordx2 v[93:94], v119, s[8:9] offset:2176
	global_load_dwordx2 v[89:90], v119, s[8:9] offset:2720
	;; [unrolled: 1-line block ×4, first 2 shown]
	v_mov_b32_e32 v19, s0
	v_add_co_u32_e32 v0, vcc, s1, v0
	v_addc_co_u32_e32 v1, vcc, v1, v19, vcc
	s_movk_i32 s8, 0x1000
	v_add_co_u32_e32 v21, vcc, s8, v144
	v_addc_co_u32_e32 v22, vcc, 0, v37, vcc
	global_load_dwordx2 v[19:20], v[0:1], off
	v_mov_b32_e32 v23, s0
	v_add_co_u32_e32 v0, vcc, s1, v0
	v_addc_co_u32_e32 v1, vcc, v1, v23, vcc
	global_load_dwordx2 v[23:24], v[0:1], off
	v_mov_b32_e32 v25, s0
	;; [unrolled: 4-line block ×3, first 2 shown]
	v_add_co_u32_e32 v0, vcc, s1, v0
	v_addc_co_u32_e32 v1, vcc, v1, v27, vcc
	global_load_dwordx2 v[27:28], v[0:1], off
	global_load_dwordx2 v[87:88], v[21:22], off offset:256
	global_load_dwordx2 v[81:82], v[21:22], off offset:800
	;; [unrolled: 1-line block ×4, first 2 shown]
	v_mov_b32_e32 v29, s0
	v_add_co_u32_e32 v0, vcc, s1, v0
	v_addc_co_u32_e32 v1, vcc, v1, v29, vcc
	global_load_dwordx2 v[29:30], v[0:1], off
	global_load_dwordx2 v[70:71], v[21:22], off offset:2432
	v_mov_b32_e32 v31, s0
	v_add_co_u32_e32 v0, vcc, s1, v0
	v_addc_co_u32_e32 v1, vcc, v1, v31, vcc
	global_load_dwordx2 v[31:32], v[0:1], off
	v_mov_b32_e32 v33, s0
	v_add_co_u32_e32 v0, vcc, s1, v0
	v_addc_co_u32_e32 v1, vcc, v1, v33, vcc
	global_load_dwordx2 v[33:34], v[0:1], off
	v_mov_b32_e32 v35, s0
	v_add_co_u32_e32 v0, vcc, s1, v0
	v_addc_co_u32_e32 v1, vcc, v1, v35, vcc
	global_load_dwordx2 v[74:75], v[21:22], off offset:2976
	global_load_dwordx2 v[35:36], v[0:1], off
	global_load_dwordx2 v[68:69], v[21:22], off offset:3520
	global_load_dwordx2 v[66:67], v[21:22], off offset:4064
	v_mov_b32_e32 v21, s0
	v_add_co_u32_e32 v0, vcc, s1, v0
	v_addc_co_u32_e32 v1, vcc, v1, v21, vcc
	s_movk_i32 s0, 0x2000
	v_add_co_u32_e32 v21, vcc, s0, v144
	v_addc_co_u32_e32 v22, vcc, 0, v37, vcc
	global_load_dwordx2 v[0:1], v[0:1], off
	v_sub_u32_e32 v16, v80, v16
	global_load_dwordx2 v[64:65], v[21:22], off offset:512
	s_waitcnt vmcnt(29)
	v_mul_f32_e32 v21, v9, v98
	v_mul_u32_u24_e32 v16, 0x484, v16
	v_fmac_f32_e32 v21, v8, v97
	v_mul_f32_e32 v8, v8, v98
	v_lshlrev_b32_e32 v143, 3, v16
	v_fma_f32 v22, v9, v97, -v8
	s_waitcnt vmcnt(28)
	v_mul_f32_e32 v8, v11, v96
	v_mul_f32_e32 v9, v10, v96
	v_add_u32_e32 v141, v119, v143
	v_fmac_f32_e32 v8, v10, v95
	v_fma_f32 v9, v11, v95, -v9
	ds_write2_b64 v141, v[21:22], v[8:9] offset1:68
	s_waitcnt vmcnt(27)
	v_mul_f32_e32 v8, v13, v92
	v_mul_f32_e32 v9, v12, v92
	s_waitcnt vmcnt(26)
	v_mul_f32_e32 v10, v15, v86
	v_mul_f32_e32 v11, v14, v86
	v_fmac_f32_e32 v8, v12, v91
	v_fma_f32 v9, v13, v91, -v9
	v_fmac_f32_e32 v10, v14, v85
	v_fma_f32 v11, v15, v85, -v11
	ds_write2_b64 v141, v[8:9], v[10:11] offset0:136 offset1:204
	s_waitcnt vmcnt(21)
	v_mul_f32_e32 v8, v3, v94
	v_fmac_f32_e32 v8, v2, v93
	v_mul_f32_e32 v2, v2, v94
	v_fma_f32 v9, v3, v93, -v2
	s_waitcnt vmcnt(20)
	v_mul_f32_e32 v2, v5, v90
	v_mul_f32_e32 v3, v4, v90
	v_fmac_f32_e32 v2, v4, v89
	v_fma_f32 v3, v5, v89, -v3
	v_add_u32_e32 v16, 0x800, v141
	ds_write2_b64 v16, v[8:9], v[2:3] offset0:16 offset1:84
	s_waitcnt vmcnt(19)
	v_mul_f32_e32 v2, v7, v84
	v_mul_f32_e32 v3, v6, v84
	s_waitcnt vmcnt(18)
	v_mul_f32_e32 v4, v18, v79
	v_mul_f32_e32 v5, v17, v79
	v_fmac_f32_e32 v2, v6, v83
	v_fma_f32 v3, v7, v83, -v3
	v_fmac_f32_e32 v4, v17, v78
	v_fma_f32 v5, v18, v78, -v5
	ds_write2_b64 v16, v[2:3], v[4:5] offset0:152 offset1:220
	s_waitcnt vmcnt(13)
	v_mul_f32_e32 v2, v20, v88
	v_mul_f32_e32 v3, v19, v88
	s_waitcnt vmcnt(12)
	v_mul_f32_e32 v4, v24, v82
	v_mul_f32_e32 v5, v23, v82
	v_fmac_f32_e32 v2, v19, v87
	v_fma_f32 v3, v20, v87, -v3
	v_fmac_f32_e32 v4, v23, v81
	v_fma_f32 v5, v24, v81, -v5
	v_add_u32_e32 v17, 0x1000, v141
	ds_write2_b64 v17, v[2:3], v[4:5] offset0:32 offset1:100
	s_waitcnt vmcnt(11)
	v_mul_f32_e32 v2, v26, v77
	v_mul_f32_e32 v3, v25, v77
	s_waitcnt vmcnt(10)
	v_mul_f32_e32 v4, v28, v73
	v_mul_f32_e32 v5, v27, v73
	v_fmac_f32_e32 v2, v25, v76
	v_fma_f32 v3, v26, v76, -v3
	v_fmac_f32_e32 v4, v27, v72
	v_fma_f32 v5, v28, v72, -v5
	ds_write2_b64 v17, v[2:3], v[4:5] offset0:168 offset1:236
	s_waitcnt vmcnt(8)
	v_mul_f32_e32 v2, v30, v71
	v_mul_f32_e32 v3, v29, v71
	v_fmac_f32_e32 v2, v29, v70
	v_fma_f32 v3, v30, v70, -v3
	s_waitcnt vmcnt(5)
	v_mul_f32_e32 v4, v32, v75
	v_mul_f32_e32 v5, v31, v75
	v_fmac_f32_e32 v4, v31, v74
	v_fma_f32 v5, v32, v74, -v5
	v_add_u32_e32 v18, 0x1800, v141
	ds_write2_b64 v18, v[2:3], v[4:5] offset0:48 offset1:116
	s_waitcnt vmcnt(3)
	v_mul_f32_e32 v2, v34, v69
	v_mul_f32_e32 v3, v33, v69
	s_waitcnt vmcnt(2)
	v_mul_f32_e32 v4, v36, v67
	v_mul_f32_e32 v5, v35, v67
	v_fmac_f32_e32 v2, v33, v68
	v_fma_f32 v3, v34, v68, -v3
	v_fmac_f32_e32 v4, v35, v66
	v_fma_f32 v5, v36, v66, -v5
	ds_write2_b64 v18, v[2:3], v[4:5] offset0:184 offset1:252
	s_mov_b32 s13, 0x3f6eb680
	s_waitcnt vmcnt(0)
	v_mul_f32_e32 v2, v1, v65
	v_fmac_f32_e32 v2, v0, v64
	v_mul_f32_e32 v0, v0, v65
	v_fma_f32 v3, v1, v64, -v0
	ds_write_b64 v141, v[2:3] offset:8704
	s_waitcnt lgkmcnt(0)
	s_barrier
	ds_read2_b64 v[19:22], v141 offset1:68
	ds_read2_b64 v[23:26], v141 offset0:136 offset1:204
	ds_read2_b64 v[27:30], v16 offset0:16 offset1:84
	;; [unrolled: 1-line block ×7, first 2 shown]
	ds_read_b64 v[14:15], v141 offset:8704
	s_waitcnt lgkmcnt(8)
	v_add_f32_e32 v12, v19, v21
	s_waitcnt lgkmcnt(7)
	v_add_f32_e32 v12, v12, v23
	v_add_f32_e32 v13, v20, v22
	v_add_f32_e32 v12, v12, v25
	v_add_f32_e32 v13, v13, v24
	s_waitcnt lgkmcnt(6)
	v_add_f32_e32 v12, v12, v27
	v_add_f32_e32 v13, v13, v26
	v_add_f32_e32 v12, v12, v29
	;; [unrolled: 5-line block ×7, first 2 shown]
	v_add_f32_e32 v13, v13, v36
	s_waitcnt lgkmcnt(0)
	v_add_f32_e32 v12, v12, v14
	v_add_f32_e32 v39, v14, v21
	v_sub_f32_e32 v14, v21, v14
	v_add_f32_e32 v13, v13, v38
	v_mul_f32_e32 v41, 0xbeb8f4ab, v14
	v_mul_f32_e32 v45, 0xbf2c7751, v14
	;; [unrolled: 1-line block ×8, first 2 shown]
	v_add_f32_e32 v13, v13, v15
	v_add_f32_e32 v40, v15, v22
	v_sub_f32_e32 v15, v22, v15
	v_mov_b32_e32 v42, v41
	s_mov_b32 s8, 0x3f3d2fb0
	v_mov_b32_e32 v46, v45
	s_mov_b32 s1, 0x3ee437d1
	;; [unrolled: 2-line block ×4, first 2 shown]
	v_mov_b32_e32 v58, v57
	v_mov_b32_e32 v62, v61
	s_mov_b32 s15, 0xbf59a7d5
	v_mov_b32_e32 v101, v100
	v_mov_b32_e32 v103, v14
	v_mul_f32_e32 v21, 0xbeb8f4ab, v15
	v_fmac_f32_e32 v42, 0x3f6eb680, v40
	v_fma_f32 v41, v40, s13, -v41
	v_mul_f32_e32 v43, 0xbf2c7751, v15
	v_fmac_f32_e32 v46, 0x3f3d2fb0, v40
	v_fma_f32 v45, v40, s8, -v45
	;; [unrolled: 3-line block ×8, first 2 shown]
	v_fma_f32 v22, v39, s13, -v21
	v_add_f32_e32 v42, v20, v42
	v_fmac_f32_e32 v21, 0x3f6eb680, v39
	v_add_f32_e32 v41, v20, v41
	v_fma_f32 v44, v39, s8, -v43
	v_add_f32_e32 v46, v20, v46
	v_fmac_f32_e32 v43, 0x3f3d2fb0, v39
	v_add_f32_e32 v45, v20, v45
	;; [unrolled: 4-line block ×8, first 2 shown]
	v_add_f32_e32 v20, v38, v24
	v_sub_f32_e32 v24, v24, v38
	v_add_f32_e32 v22, v19, v22
	v_add_f32_e32 v21, v19, v21
	;; [unrolled: 1-line block ×17, first 2 shown]
	v_sub_f32_e32 v23, v23, v37
	v_mul_f32_e32 v37, 0xbf2c7751, v24
	v_fma_f32 v38, v19, s8, -v37
	v_add_f32_e32 v22, v38, v22
	v_mul_f32_e32 v38, 0xbf2c7751, v23
	v_fmac_f32_e32 v37, 0x3f3d2fb0, v19
	v_mov_b32_e32 v39, v38
	v_add_f32_e32 v21, v37, v21
	v_fma_f32 v37, v20, s8, -v38
	v_mul_f32_e32 v38, 0xbf7ee86f, v24
	v_fma_f32 v40, v19, s0, -v38
	v_fmac_f32_e32 v38, 0x3dbcf732, v19
	v_fmac_f32_e32 v39, 0x3f3d2fb0, v20
	v_add_f32_e32 v37, v37, v41
	v_mul_f32_e32 v41, 0xbf7ee86f, v23
	v_add_f32_e32 v38, v38, v43
	v_mul_f32_e32 v43, 0xbf4c4adb, v24
	v_add_f32_e32 v39, v39, v42
	v_add_f32_e32 v40, v40, v44
	v_mov_b32_e32 v42, v41
	v_fma_f32 v41, v20, s0, -v41
	v_fma_f32 v44, v19, s14, -v43
	v_fmac_f32_e32 v43, 0xbf1a4643, v19
	v_fmac_f32_e32 v42, 0x3dbcf732, v20
	v_add_f32_e32 v41, v41, v45
	v_mul_f32_e32 v45, 0xbf4c4adb, v23
	v_add_f32_e32 v43, v43, v47
	v_mul_f32_e32 v47, 0xbe3c28d5, v24
	v_add_f32_e32 v42, v42, v46
	v_add_f32_e32 v44, v44, v48
	v_mov_b32_e32 v46, v45
	v_fma_f32 v45, v20, s14, -v45
	;; [unrolled: 11-line block ×5, first 2 shown]
	v_fma_f32 v60, v19, s1, -v59
	v_fmac_f32_e32 v59, 0x3ee437d1, v19
	v_mul_f32_e32 v24, 0x3eb8f4ab, v24
	v_add_f32_e32 v57, v57, v61
	v_mul_f32_e32 v61, 0x3f65296c, v23
	v_add_f32_e32 v59, v59, v63
	v_fma_f32 v63, v19, s13, -v24
	v_mul_f32_e32 v23, 0x3eb8f4ab, v23
	v_fmac_f32_e32 v24, 0x3f6eb680, v19
	v_fmac_f32_e32 v58, 0xbe8c1d8e, v20
	v_add_f32_e32 v15, v24, v15
	v_fma_f32 v19, v20, s13, -v23
	v_sub_f32_e32 v24, v26, v36
	v_add_f32_e32 v58, v58, v62
	v_add_f32_e32 v60, v60, v99
	v_mov_b32_e32 v62, v61
	v_mov_b32_e32 v99, v23
	v_add_f32_e32 v14, v19, v14
	v_add_f32_e32 v19, v35, v25
	v_sub_f32_e32 v23, v25, v35
	v_mul_f32_e32 v25, 0xbf65296c, v24
	v_fmac_f32_e32 v62, 0x3ee437d1, v20
	v_fma_f32 v61, v20, s1, -v61
	v_fmac_f32_e32 v99, 0x3f6eb680, v20
	v_add_f32_e32 v20, v36, v26
	v_fma_f32 v26, v19, s1, -v25
	v_add_f32_e32 v22, v26, v22
	v_mul_f32_e32 v26, 0xbf65296c, v23
	v_fmac_f32_e32 v25, 0x3ee437d1, v19
	v_mov_b32_e32 v35, v26
	v_add_f32_e32 v21, v25, v21
	v_fma_f32 v25, v20, s1, -v26
	v_mul_f32_e32 v26, 0xbf4c4adb, v24
	v_fma_f32 v36, v19, s14, -v26
	v_fmac_f32_e32 v26, 0xbf1a4643, v19
	v_fmac_f32_e32 v35, 0x3ee437d1, v20
	v_add_f32_e32 v25, v25, v37
	v_mul_f32_e32 v37, 0xbf4c4adb, v23
	v_add_f32_e32 v26, v26, v38
	v_mul_f32_e32 v38, 0x3e3c28d5, v24
	v_add_f32_e32 v35, v35, v39
	v_add_f32_e32 v36, v36, v40
	v_mov_b32_e32 v39, v37
	v_fma_f32 v37, v20, s14, -v37
	v_fma_f32 v40, v19, s18, -v38
	v_fmac_f32_e32 v38, 0xbf7ba420, v19
	v_fmac_f32_e32 v39, 0xbf1a4643, v20
	v_add_f32_e32 v37, v37, v41
	v_mul_f32_e32 v41, 0x3e3c28d5, v23
	v_add_f32_e32 v38, v38, v43
	v_mul_f32_e32 v43, 0x3f763a35, v24
	v_add_f32_e32 v39, v39, v42
	v_add_f32_e32 v40, v40, v44
	v_mov_b32_e32 v42, v41
	v_fma_f32 v41, v20, s18, -v41
	;; [unrolled: 11-line block ×5, first 2 shown]
	v_fma_f32 v56, v19, s0, -v55
	v_fmac_f32_e32 v55, 0x3dbcf732, v19
	v_mul_f32_e32 v24, 0xbf06c442, v24
	v_add_f32_e32 v53, v53, v57
	v_mul_f32_e32 v57, 0xbf7ee86f, v23
	v_add_f32_e32 v55, v55, v59
	v_fma_f32 v59, v19, s15, -v24
	v_mul_f32_e32 v23, 0xbf06c442, v23
	v_fmac_f32_e32 v24, 0xbf59a7d5, v19
	v_fmac_f32_e32 v54, 0x3f6eb680, v20
	v_add_f32_e32 v15, v24, v15
	v_fma_f32 v19, v20, s15, -v23
	v_sub_f32_e32 v24, v28, v34
	v_add_f32_e32 v54, v54, v58
	v_add_f32_e32 v56, v56, v60
	v_mov_b32_e32 v58, v57
	v_mov_b32_e32 v60, v23
	v_add_f32_e32 v14, v19, v14
	v_add_f32_e32 v19, v33, v27
	v_sub_f32_e32 v23, v27, v33
	v_mul_f32_e32 v27, 0xbf7ee86f, v24
	v_fmac_f32_e32 v58, 0x3dbcf732, v20
	v_fma_f32 v57, v20, s0, -v57
	v_fmac_f32_e32 v60, 0xbf59a7d5, v20
	v_add_f32_e32 v20, v34, v28
	v_fma_f32 v28, v19, s0, -v27
	v_add_f32_e32 v22, v28, v22
	v_mul_f32_e32 v28, 0xbf7ee86f, v23
	v_fmac_f32_e32 v27, 0x3dbcf732, v19
	v_add_f32_e32 v21, v27, v21
	v_fma_f32 v27, v20, s0, -v28
	v_mov_b32_e32 v33, v28
	v_add_f32_e32 v25, v27, v25
	v_mul_f32_e32 v27, 0xbe3c28d5, v24
	v_fmac_f32_e32 v33, 0x3dbcf732, v20
	v_fma_f32 v28, v19, s18, -v27
	v_mul_f32_e32 v34, 0xbe3c28d5, v23
	v_fmac_f32_e32 v27, 0xbf7ba420, v19
	v_add_f32_e32 v33, v33, v35
	v_mov_b32_e32 v35, v34
	v_add_f32_e32 v26, v27, v26
	v_fma_f32 v27, v20, s18, -v34
	v_mul_f32_e32 v34, 0x3f763a35, v24
	v_add_f32_e32 v28, v28, v36
	v_fma_f32 v36, v19, s12, -v34
	v_fmac_f32_e32 v34, 0xbe8c1d8e, v19
	v_fmac_f32_e32 v35, 0xbf7ba420, v20
	v_add_f32_e32 v27, v27, v37
	v_mul_f32_e32 v37, 0x3f763a35, v23
	v_add_f32_e32 v34, v34, v38
	v_mul_f32_e32 v38, 0x3eb8f4ab, v24
	v_add_f32_e32 v35, v35, v39
	v_add_f32_e32 v36, v36, v40
	v_mov_b32_e32 v39, v37
	v_fma_f32 v37, v20, s12, -v37
	v_fma_f32 v40, v19, s13, -v38
	v_fmac_f32_e32 v38, 0x3f6eb680, v19
	v_fmac_f32_e32 v39, 0xbe8c1d8e, v20
	v_add_f32_e32 v37, v37, v41
	v_mul_f32_e32 v41, 0x3eb8f4ab, v23
	v_add_f32_e32 v38, v38, v43
	v_mul_f32_e32 v43, 0xbf65296c, v24
	v_add_f32_e32 v39, v39, v42
	v_add_f32_e32 v40, v40, v44
	v_mov_b32_e32 v42, v41
	v_fma_f32 v41, v20, s13, -v41
	;; [unrolled: 11-line block ×4, first 2 shown]
	v_fma_f32 v52, v19, s14, -v51
	v_fmac_f32_e32 v51, 0xbf1a4643, v19
	v_mul_f32_e32 v24, 0x3f2c7751, v24
	v_add_f32_e32 v49, v49, v53
	v_mul_f32_e32 v53, 0x3f4c4adb, v23
	v_add_f32_e32 v51, v51, v55
	v_fma_f32 v55, v19, s8, -v24
	v_mul_f32_e32 v23, 0x3f2c7751, v23
	v_fmac_f32_e32 v24, 0x3f3d2fb0, v19
	v_fmac_f32_e32 v50, 0xbf59a7d5, v20
	v_add_f32_e32 v15, v24, v15
	v_fma_f32 v19, v20, s8, -v23
	v_sub_f32_e32 v24, v30, v32
	v_add_f32_e32 v50, v50, v54
	v_add_f32_e32 v52, v52, v56
	v_mov_b32_e32 v54, v53
	v_mov_b32_e32 v56, v23
	v_add_f32_e32 v14, v19, v14
	v_add_f32_e32 v19, v31, v29
	v_sub_f32_e32 v23, v29, v31
	v_mul_f32_e32 v29, 0xbf763a35, v24
	v_fmac_f32_e32 v54, 0xbf1a4643, v20
	v_fma_f32 v53, v20, s14, -v53
	v_fmac_f32_e32 v56, 0x3f3d2fb0, v20
	v_add_f32_e32 v20, v32, v30
	v_fma_f32 v30, v19, s12, -v29
	v_add_f32_e32 v22, v30, v22
	v_mul_f32_e32 v30, 0xbf763a35, v23
	v_fmac_f32_e32 v29, 0xbe8c1d8e, v19
	v_add_f32_e32 v21, v29, v21
	v_fma_f32 v29, v20, s12, -v30
	v_add_f32_e32 v25, v29, v25
	v_mul_f32_e32 v29, 0x3f06c442, v24
	v_mov_b32_e32 v31, v30
	v_fma_f32 v30, v19, s15, -v29
	v_add_f32_e32 v28, v30, v28
	v_mul_f32_e32 v30, 0x3f06c442, v23
	v_fmac_f32_e32 v29, 0xbf59a7d5, v19
	v_add_f32_e32 v26, v29, v26
	v_fma_f32 v29, v20, s15, -v30
	v_fmac_f32_e32 v31, 0xbe8c1d8e, v20
	v_mov_b32_e32 v32, v30
	v_add_f32_e32 v27, v29, v27
	v_mul_f32_e32 v29, 0x3f2c7751, v24
	v_add_f32_e32 v31, v31, v33
	v_fmac_f32_e32 v32, 0xbf59a7d5, v20
	v_fma_f32 v30, v19, s8, -v29
	v_mul_f32_e32 v33, 0x3f2c7751, v23
	v_fmac_f32_e32 v29, 0x3f3d2fb0, v19
	v_add_f32_e32 v32, v32, v35
	v_mov_b32_e32 v35, v33
	v_add_f32_e32 v29, v29, v34
	v_fma_f32 v33, v20, s8, -v33
	v_mul_f32_e32 v34, 0xbf65296c, v24
	v_add_f32_e32 v30, v30, v36
	v_fmac_f32_e32 v35, 0x3f3d2fb0, v20
	v_add_f32_e32 v33, v33, v37
	v_fma_f32 v36, v19, s1, -v34
	v_mul_f32_e32 v37, 0xbf65296c, v23
	v_fmac_f32_e32 v34, 0x3ee437d1, v19
	v_add_f32_e32 v35, v35, v39
	v_mov_b32_e32 v39, v37
	v_add_f32_e32 v34, v34, v38
	v_fma_f32 v37, v20, s1, -v37
	v_mul_f32_e32 v38, 0xbe3c28d5, v24
	v_add_f32_e32 v36, v36, v40
	v_fmac_f32_e32 v39, 0x3ee437d1, v20
	v_add_f32_e32 v37, v37, v41
	;; [unrolled: 11-line block ×4, first 2 shown]
	v_fma_f32 v48, v19, s13, -v47
	v_mul_f32_e32 v49, 0xbeb8f4ab, v23
	v_mul_f32_e32 v23, 0xbf4c4adb, v23
	v_add_f32_e32 v46, v46, v50
	v_add_f32_e32 v48, v48, v52
	v_mov_b32_e32 v50, v49
	v_fmac_f32_e32 v47, 0x3f6eb680, v19
	v_mul_f32_e32 v24, 0xbf4c4adb, v24
	v_mov_b32_e32 v52, v23
	v_fmac_f32_e32 v50, 0x3f6eb680, v20
	v_add_f32_e32 v47, v47, v51
	v_fma_f32 v49, v20, s13, -v49
	v_fma_f32 v51, v19, s14, -v24
	v_fmac_f32_e32 v52, 0xbf1a4643, v20
	v_fmac_f32_e32 v24, 0xbf1a4643, v19
	v_fma_f32 v19, v20, s14, -v23
	v_add_f32_e32 v20, v11, v5
	v_sub_f32_e32 v5, v5, v11
	v_add_f32_e32 v14, v19, v14
	v_add_f32_e32 v19, v10, v4
	v_sub_f32_e32 v4, v4, v10
	v_mul_f32_e32 v10, 0xbf4c4adb, v5
	v_fma_f32 v11, v19, s14, -v10
	v_add_f32_e32 v11, v11, v22
	v_mul_f32_e32 v22, 0xbf4c4adb, v4
	v_fmac_f32_e32 v10, 0xbf1a4643, v19
	v_mov_b32_e32 v23, v22
	v_add_f32_e32 v10, v10, v21
	v_fma_f32 v21, v20, s14, -v22
	v_mul_f32_e32 v22, 0x3f763a35, v5
	v_add_f32_e32 v15, v24, v15
	v_add_f32_e32 v21, v21, v25
	v_fma_f32 v24, v19, s12, -v22
	v_mul_f32_e32 v25, 0x3f763a35, v4
	v_fmac_f32_e32 v22, 0xbe8c1d8e, v19
	v_add_f32_e32 v24, v24, v28
	v_mov_b32_e32 v28, v25
	v_add_f32_e32 v22, v22, v26
	v_fma_f32 v25, v20, s12, -v25
	v_mul_f32_e32 v26, 0xbeb8f4ab, v5
	v_add_f32_e32 v25, v25, v27
	v_fma_f32 v27, v19, s13, -v26
	v_fmac_f32_e32 v23, 0xbf1a4643, v20
	v_add_f32_e32 v27, v27, v30
	v_mul_f32_e32 v30, 0xbeb8f4ab, v4
	v_fmac_f32_e32 v26, 0x3f6eb680, v19
	v_add_f32_e32 v23, v23, v31
	v_fmac_f32_e32 v28, 0xbe8c1d8e, v20
	v_mov_b32_e32 v31, v30
	v_add_f32_e32 v26, v26, v29
	v_fma_f32 v29, v20, s13, -v30
	v_mul_f32_e32 v30, 0xbf06c442, v5
	v_add_f32_e32 v28, v28, v32
	v_fma_f32 v32, v19, s15, -v30
	v_fmac_f32_e32 v30, 0xbf59a7d5, v19
	v_fmac_f32_e32 v31, 0x3f6eb680, v20
	v_add_f32_e32 v29, v29, v33
	v_mul_f32_e32 v33, 0xbf06c442, v4
	v_add_f32_e32 v30, v30, v34
	v_mul_f32_e32 v34, 0x3f7ee86f, v5
	v_add_f32_e32 v31, v31, v35
	v_add_f32_e32 v32, v32, v36
	v_mov_b32_e32 v35, v33
	v_fma_f32 v33, v20, s15, -v33
	v_fma_f32 v36, v19, s0, -v34
	v_fmac_f32_e32 v34, 0x3dbcf732, v19
	v_fmac_f32_e32 v35, 0xbf59a7d5, v20
	v_add_f32_e32 v33, v33, v37
	v_mul_f32_e32 v37, 0x3f7ee86f, v4
	v_add_f32_e32 v34, v34, v38
	v_mul_f32_e32 v38, 0xbf2c7751, v5
	v_add_f32_e32 v35, v35, v39
	v_add_f32_e32 v36, v36, v40
	v_mov_b32_e32 v39, v37
	v_fma_f32 v37, v20, s0, -v37
	;; [unrolled: 11-line block ×3, first 2 shown]
	v_fma_f32 v44, v19, s18, -v43
	v_fmac_f32_e32 v43, 0xbf7ba420, v19
	v_mul_f32_e32 v5, 0x3f65296c, v5
	v_add_f32_e32 v41, v41, v45
	v_mul_f32_e32 v45, 0xbe3c28d5, v4
	v_add_f32_e32 v43, v43, v47
	v_fma_f32 v47, v19, s1, -v5
	v_mul_f32_e32 v4, 0x3f65296c, v4
	v_fmac_f32_e32 v5, 0x3ee437d1, v19
	v_add_f32_e32 v44, v44, v48
	v_mov_b32_e32 v48, v4
	v_add_f32_e32 v5, v5, v15
	v_fma_f32 v4, v20, s1, -v4
	v_add_f32_e32 v15, v9, v7
	v_sub_f32_e32 v7, v7, v9
	v_add_f32_e32 v4, v4, v14
	v_add_f32_e32 v14, v8, v6
	v_sub_f32_e32 v6, v6, v8
	v_mul_f32_e32 v8, 0xbf06c442, v7
	v_fma_f32 v9, v14, s15, -v8
	v_fmac_f32_e32 v42, 0x3f3d2fb0, v20
	v_add_f32_e32 v9, v9, v11
	v_mul_f32_e32 v11, 0xbf06c442, v6
	v_fmac_f32_e32 v8, 0xbf59a7d5, v14
	v_add_f32_e32 v42, v42, v46
	v_mov_b32_e32 v46, v45
	v_mov_b32_e32 v19, v11
	v_add_f32_e32 v8, v8, v10
	v_fma_f32 v10, v15, s15, -v11
	v_mul_f32_e32 v11, 0x3f65296c, v7
	v_fmac_f32_e32 v46, 0xbf7ba420, v20
	v_fma_f32 v45, v20, s18, -v45
	v_fmac_f32_e32 v48, 0x3ee437d1, v20
	v_fmac_f32_e32 v19, 0xbf59a7d5, v15
	v_add_f32_e32 v10, v10, v21
	v_fma_f32 v20, v14, s1, -v11
	v_mul_f32_e32 v21, 0x3f65296c, v6
	v_fmac_f32_e32 v11, 0x3ee437d1, v14
	v_add_f32_e32 v19, v19, v23
	v_mov_b32_e32 v23, v21
	v_add_f32_e32 v11, v11, v22
	v_fma_f32 v21, v15, s1, -v21
	v_mul_f32_e32 v22, 0xbf7ee86f, v7
	v_add_f32_e32 v20, v20, v24
	v_add_f32_e32 v21, v21, v25
	v_fma_f32 v24, v14, s0, -v22
	v_mul_f32_e32 v25, 0xbf7ee86f, v6
	v_fmac_f32_e32 v22, 0x3dbcf732, v14
	v_fmac_f32_e32 v23, 0x3ee437d1, v15
	v_add_f32_e32 v24, v24, v27
	v_mov_b32_e32 v27, v25
	v_add_f32_e32 v22, v22, v26
	v_fma_f32 v25, v15, s0, -v25
	v_mul_f32_e32 v26, 0x3f4c4adb, v7
	v_add_f32_e32 v23, v23, v28
	v_fmac_f32_e32 v27, 0x3dbcf732, v15
	v_add_f32_e32 v25, v25, v29
	v_fma_f32 v28, v14, s14, -v26
	v_mul_f32_e32 v29, 0x3f4c4adb, v6
	v_fmac_f32_e32 v26, 0xbf1a4643, v14
	v_add_f32_e32 v27, v27, v31
	v_mov_b32_e32 v31, v29
	v_add_f32_e32 v26, v26, v30
	v_mul_f32_e32 v30, 0xbeb8f4ab, v7
	v_add_f32_e32 v28, v28, v32
	v_fmac_f32_e32 v31, 0xbf1a4643, v15
	v_fma_f32 v32, v14, s13, -v30
	v_add_f32_e32 v31, v31, v35
	v_fma_f32 v29, v15, s14, -v29
	v_add_f32_e32 v35, v32, v36
	v_mul_f32_e32 v32, 0xbeb8f4ab, v6
	v_add_f32_e32 v29, v29, v33
	v_mov_b32_e32 v33, v32
	v_fmac_f32_e32 v30, 0x3f6eb680, v14
	v_fma_f32 v32, v15, s13, -v32
	v_fmac_f32_e32 v33, 0x3f6eb680, v15
	v_add_f32_e32 v30, v30, v34
	v_add_f32_e32 v34, v32, v37
	v_mul_f32_e32 v32, 0xbe3c28d5, v7
	v_add_f32_e32 v36, v33, v39
	v_fma_f32 v33, v14, s18, -v32
	v_add_f32_e32 v37, v33, v40
	v_mul_f32_e32 v33, 0xbe3c28d5, v6
	v_fmac_f32_e32 v32, 0xbf7ba420, v14
	v_add_f32_e32 v61, v61, v100
	v_add_f32_e32 v38, v32, v38
	v_fma_f32 v32, v15, s18, -v33
	v_add_f32_e32 v63, v63, v102
	v_add_f32_e32 v99, v99, v103
	;; [unrolled: 1-line block ×4, first 2 shown]
	v_mul_f32_e32 v32, 0x3f2c7751, v7
	v_add_f32_e32 v59, v59, v63
	v_add_f32_e32 v60, v60, v99
	;; [unrolled: 1-line block ×3, first 2 shown]
	v_mov_b32_e32 v39, v33
	v_fma_f32 v33, v14, s8, -v32
	v_add_f32_e32 v62, v62, v101
	v_add_f32_e32 v55, v55, v59
	;; [unrolled: 1-line block ×5, first 2 shown]
	v_mul_f32_e32 v33, 0x3f2c7751, v6
	v_fmac_f32_e32 v32, 0x3f3d2fb0, v14
	v_add_f32_e32 v58, v58, v62
	v_add_f32_e32 v51, v51, v55
	;; [unrolled: 1-line block ×5, first 2 shown]
	v_fma_f32 v32, v15, s8, -v33
	v_mul_f32_e32 v7, 0xbf763a35, v7
	v_add_f32_e32 v54, v54, v58
	v_add_f32_e32 v47, v47, v51
	;; [unrolled: 1-line block ×3, first 2 shown]
	v_fmac_f32_e32 v39, 0xbf7ba420, v15
	v_add_f32_e32 v44, v32, v45
	v_fma_f32 v32, v14, s12, -v7
	v_mul_f32_e32 v6, 0xbf763a35, v6
	v_sub_f32_e32 v52, v1, v3
	v_add_f32_e32 v50, v50, v54
	v_add_f32_e32 v39, v39, v42
	v_mov_b32_e32 v42, v33
	v_add_f32_e32 v45, v32, v47
	v_mov_b32_e32 v32, v6
	v_fmac_f32_e32 v7, 0xbe8c1d8e, v14
	v_add_f32_e32 v49, v2, v0
	v_sub_f32_e32 v51, v0, v2
	v_mul_f32_e32 v2, 0xbe3c28d5, v52
	v_add_f32_e32 v46, v46, v50
	v_fmac_f32_e32 v42, 0x3f3d2fb0, v15
	v_fmac_f32_e32 v32, 0xbe8c1d8e, v15
	v_add_f32_e32 v47, v7, v5
	v_fma_f32 v5, v15, s12, -v6
	v_add_f32_e32 v50, v3, v1
	v_fma_f32 v0, v49, s18, -v2
	v_mul_f32_e32 v3, 0xbe3c28d5, v51
	v_fmac_f32_e32 v2, 0xbf7ba420, v49
	v_add_f32_e32 v42, v42, v46
	v_add_f32_e32 v46, v32, v48
	;; [unrolled: 1-line block ×4, first 2 shown]
	v_fma_f32 v2, v50, s18, -v3
	v_mul_f32_e32 v4, 0x3eb8f4ab, v52
	v_add_f32_e32 v0, v0, v9
	v_add_f32_e32 v33, v2, v10
	v_fma_f32 v2, v49, s13, -v4
	v_mul_f32_e32 v5, 0x3eb8f4ab, v51
	v_fmac_f32_e32 v4, 0x3f6eb680, v49
	v_mul_f32_e32 v8, 0xbf06c442, v52
	v_mul_f32_e32 v9, 0xbf06c442, v51
	;; [unrolled: 1-line block ×3, first 2 shown]
	v_mov_b32_e32 v1, v3
	v_mov_b32_e32 v3, v5
	v_add_f32_e32 v4, v4, v11
	v_fma_f32 v6, v49, s15, -v8
	v_mov_b32_e32 v7, v9
	v_fmac_f32_e32 v8, 0xbf59a7d5, v49
	v_fma_f32 v9, v50, s15, -v9
	v_mov_b32_e32 v11, v15
	v_fmac_f32_e32 v3, 0x3f6eb680, v50
	v_fma_f32 v5, v50, s13, -v5
	v_add_f32_e32 v8, v8, v22
	v_add_f32_e32 v9, v9, v25
	v_fmac_f32_e32 v11, 0x3f3d2fb0, v50
	v_mul_f32_e32 v22, 0xbf4c4adb, v51
	v_mul_f32_e32 v25, 0x3f65296c, v52
	v_fmac_f32_e32 v1, 0xbf7ba420, v50
	v_add_f32_e32 v2, v2, v20
	v_add_f32_e32 v3, v3, v23
	;; [unrolled: 1-line block ×3, first 2 shown]
	v_mul_f32_e32 v14, 0x3f2c7751, v52
	v_add_f32_e32 v11, v11, v31
	v_mul_f32_e32 v21, 0xbf4c4adb, v52
	v_mov_b32_e32 v20, v22
	v_fma_f32 v22, v50, s14, -v22
	v_fma_f32 v23, v49, s1, -v25
	v_mul_f32_e32 v31, 0x3f7ee86f, v52
	v_add_f32_e32 v1, v1, v19
	v_fma_f32 v10, v49, s8, -v14
	v_fmac_f32_e32 v14, 0x3f3d2fb0, v49
	v_fma_f32 v19, v49, s14, -v21
	v_fmac_f32_e32 v20, 0xbf1a4643, v50
	v_fmac_f32_e32 v21, 0xbf1a4643, v49
	v_add_f32_e32 v22, v22, v34
	v_add_f32_e32 v23, v23, v37
	v_fma_f32 v34, v49, s0, -v31
	v_mul_f32_e32 v37, 0x3f7ee86f, v51
	v_fmac_f32_e32 v31, 0x3dbcf732, v49
	v_add_f32_e32 v14, v14, v26
	v_fma_f32 v15, v50, s8, -v15
	v_add_f32_e32 v20, v20, v36
	v_add_f32_e32 v21, v21, v30
	v_mul_f32_e32 v26, 0x3f65296c, v51
	v_mul_f32_e32 v30, 0xbf763a35, v51
	v_add_f32_e32 v36, v31, v47
	v_fma_f32 v31, v50, s0, -v37
	v_add_f32_e32 v6, v6, v24
	v_fmac_f32_e32 v7, 0xbf59a7d5, v50
	v_add_f32_e32 v10, v10, v28
	v_add_f32_e32 v15, v15, v29
	;; [unrolled: 1-line block ×3, first 2 shown]
	v_mov_b32_e32 v24, v26
	v_mul_f32_e32 v29, 0xbf763a35, v52
	v_mov_b32_e32 v28, v30
	v_mov_b32_e32 v35, v37
	v_add_f32_e32 v37, v31, v48
	v_mul_lo_u16_e32 v31, 17, v142
	v_add_f32_e32 v7, v7, v27
	v_fmac_f32_e32 v24, 0x3ee437d1, v50
	v_fmac_f32_e32 v25, 0x3ee437d1, v49
	v_fma_f32 v26, v50, s1, -v26
	v_fma_f32 v27, v49, s12, -v29
	v_fmac_f32_e32 v28, 0xbe8c1d8e, v50
	v_fmac_f32_e32 v29, 0xbe8c1d8e, v49
	v_fma_f32 v30, v50, s12, -v30
	v_fmac_f32_e32 v35, 0x3dbcf732, v50
	v_lshl_add_u32 v145, v31, 3, v143
	v_add_f32_e32 v24, v24, v39
	v_add_f32_e32 v25, v25, v38
	;; [unrolled: 1-line block ×9, first 2 shown]
	s_barrier
	ds_write2_b64 v145, v[12:13], v[0:1] offset1:1
	ds_write2_b64 v145, v[2:3], v[6:7] offset0:2 offset1:3
	ds_write2_b64 v145, v[10:11], v[19:20] offset0:4 offset1:5
	;; [unrolled: 1-line block ×7, first 2 shown]
	ds_write_b64 v145, v[32:33] offset:128
	v_add_u32_e32 v0, 0x1400, v141
	s_waitcnt lgkmcnt(0)
	s_barrier
	ds_read2_b64 v[12:15], v141 offset1:68
	ds_read2_b64 v[24:27], v17 offset0:66 offset1:134
	ds_read2_b64 v[8:11], v141 offset0:136 offset1:204
	;; [unrolled: 1-line block ×6, first 2 shown]
	v_add_u32_e32 v16, 0x1c00, v141
	ds_read2_b64 v[16:19], v16 offset0:90 offset1:158
	v_cmp_gt_u16_e64 s[0:1], 34, v142
                                        ; implicit-def: $vgpr34
	s_and_saveexec_b64 s[12:13], s[0:1]
	s_cbranch_execz .LBB0_3
; %bb.2:
	ds_read_b64 v[32:33], v141 offset:4352
	ds_read_b64 v[34:35], v141 offset:8976
.LBB0_3:
	s_or_b64 exec, exec, s[12:13]
	s_movk_i32 s8, 0x110
	v_add_co_u32_e32 v37, vcc, s8, v142
	s_movk_i32 s8, 0x154
	v_add_co_u32_e32 v38, vcc, s8, v142
	;; [unrolled: 2-line block ×4, first 2 shown]
	v_add_co_u32_e32 v40, vcc, s8, v142
	s_movk_i32 s8, 0x220
	v_add_co_u32_e32 v117, vcc, s8, v142
	s_movk_i32 s8, 0xf1
	v_add_u16_e32 v48, 0x88, v142
	v_mul_lo_u16_sdwa v49, v48, s8 dst_sel:DWORD dst_unused:UNUSED_PAD src0_sel:BYTE_0 src1_sel:DWORD
	v_add_u16_e32 v45, 0x44, v142
	v_lshrrev_b16_e32 v49, 12, v49
	v_mul_lo_u16_sdwa v41, v142, s8 dst_sel:DWORD dst_unused:UNUSED_PAD src0_sel:BYTE_0 src1_sel:DWORD
	v_mul_lo_u16_sdwa v46, v45, s8 dst_sel:DWORD dst_unused:UNUSED_PAD src0_sel:BYTE_0 src1_sel:DWORD
	v_mul_lo_u16_e32 v50, 17, v49
	s_mov_b32 s8, 0xf0f1
	v_lshrrev_b16_e32 v41, 12, v41
	v_lshrrev_b16_e32 v46, 12, v46
	v_sub_u16_e32 v48, v48, v50
	v_mul_u32_u24_sdwa v50, v36, s8 dst_sel:DWORD dst_unused:UNUSED_PAD src0_sel:WORD_0 src1_sel:DWORD
	v_mul_lo_u16_e32 v42, 17, v41
	v_mul_lo_u16_e32 v47, 17, v46
	v_lshrrev_b32_e32 v50, 20, v50
	v_sub_u16_e32 v42, v142, v42
	v_mov_b32_e32 v43, 3
	v_sub_u16_e32 v45, v45, v47
	v_mul_lo_u16_e32 v51, 17, v50
	v_lshlrev_b32_sdwa v44, v43, v42 dst_sel:DWORD dst_unused:UNUSED_PAD src0_sel:DWORD src1_sel:BYTE_0
	v_lshlrev_b32_sdwa v47, v43, v45 dst_sel:DWORD dst_unused:UNUSED_PAD src0_sel:DWORD src1_sel:BYTE_0
	;; [unrolled: 1-line block ×3, first 2 shown]
	v_sub_u16_e32 v36, v36, v51
	v_lshlrev_b32_e32 v51, 3, v36
	global_load_dwordx2 v[105:106], v44, s[10:11]
	global_load_dwordx2 v[103:104], v47, s[10:11]
	;; [unrolled: 1-line block ×4, first 2 shown]
	v_mul_u32_u24_sdwa v43, v37, s8 dst_sel:DWORD dst_unused:UNUSED_PAD src0_sel:WORD_0 src1_sel:DWORD
	v_mul_u32_u24_sdwa v47, v38, s8 dst_sel:DWORD dst_unused:UNUSED_PAD src0_sel:WORD_0 src1_sel:DWORD
	v_lshrrev_b32_e32 v43, 20, v43
	v_lshrrev_b32_e32 v47, 20, v47
	v_mul_u32_u24_sdwa v52, v39, s8 dst_sel:DWORD dst_unused:UNUSED_PAD src0_sel:WORD_0 src1_sel:DWORD
	v_mul_lo_u16_e32 v44, 17, v43
	v_mul_lo_u16_e32 v51, 17, v47
	v_lshrrev_b32_e32 v52, 20, v52
	v_sub_u16_e32 v37, v37, v44
	v_sub_u16_e32 v38, v38, v51
	v_mul_lo_u16_e32 v53, 17, v52
	v_lshlrev_b32_e32 v44, 3, v37
	v_lshlrev_b32_e32 v51, 3, v38
	v_sub_u16_e32 v39, v39, v53
	v_mul_u32_u24_sdwa v53, v40, s8 dst_sel:DWORD dst_unused:UNUSED_PAD src0_sel:WORD_0 src1_sel:DWORD
	global_load_dwordx2 v[107:108], v44, s[10:11]
	global_load_dwordx2 v[113:114], v51, s[10:11]
	v_lshrrev_b32_e32 v51, 20, v53
	v_mul_lo_u16_e32 v53, 17, v51
	v_lshlrev_b32_e32 v44, 3, v39
	v_sub_u16_e32 v40, v40, v53
	global_load_dwordx2 v[111:112], v44, s[10:11]
	v_lshlrev_b32_e32 v44, 3, v40
	global_load_dwordx2 v[109:110], v44, s[10:11]
	v_mul_u32_u24_sdwa v44, v117, s8 dst_sel:DWORD dst_unused:UNUSED_PAD src0_sel:WORD_0 src1_sel:DWORD
	v_lshrrev_b32_e32 v44, 20, v44
	v_mul_lo_u16_e32 v53, 17, v44
	v_sub_u16_e32 v53, v117, v53
	v_lshlrev_b32_e32 v54, 3, v53
	global_load_dwordx2 v[115:116], v54, s[10:11]
	s_waitcnt vmcnt(0) lgkmcnt(0)
	s_barrier
	v_addc_co_u32_e64 v118, s[12:13], 0, 0, vcc
	v_mad_legacy_u16 v153, v44, 34, v53
	v_mul_f32_e32 v55, v24, v106
	v_mul_f32_e32 v56, v27, v104
	v_mul_f32_e32 v57, v26, v104
	v_mul_f32_e32 v58, v29, v102
	v_mul_f32_e32 v54, v25, v106
	v_fmac_f32_e32 v55, v25, v105
	v_fma_f32 v25, v26, v103, -v56
	v_fmac_f32_e32 v57, v27, v103
	v_fma_f32 v26, v28, v101, -v58
	v_mul_f32_e32 v27, v28, v102
	v_mul_f32_e32 v28, v31, v100
	v_fmac_f32_e32 v27, v29, v101
	v_fma_f32 v28, v30, v99, -v28
	v_mul_f32_e32 v29, v30, v100
	v_fmac_f32_e32 v29, v31, v99
	v_fma_f32 v24, v24, v105, -v54
	v_mul_f32_e32 v30, v21, v108
	v_fma_f32 v30, v20, v107, -v30
	v_mul_f32_e32 v31, v20, v108
	v_mul_f32_e32 v20, v23, v114
	v_fma_f32 v54, v22, v113, -v20
	v_fmac_f32_e32 v31, v21, v107
	v_mul_f32_e32 v20, v17, v112
	v_fma_f32 v58, v16, v111, -v20
	v_mul_f32_e32 v59, v16, v112
	v_mul_f32_e32 v16, v19, v110
	v_fma_f32 v60, v18, v109, -v16
	v_fmac_f32_e32 v59, v17, v111
	v_sub_f32_e32 v17, v13, v55
	v_fma_f32 v13, v13, 2.0, -v17
	v_mul_f32_e32 v16, v35, v116
	v_fma_f32 v62, v34, v115, -v16
	v_mul_f32_e32 v34, v34, v116
	v_fmac_f32_e32 v34, v35, v115
	v_sub_f32_e32 v136, v33, v34
	v_mad_legacy_u16 v34, v41, 34, v42
	v_sub_f32_e32 v16, v12, v24
	v_and_b32_e32 v34, 0xff, v34
	v_fma_f32 v12, v12, 2.0, -v16
	v_lshl_add_u32 v146, v34, 3, v143
	ds_write2_b64 v146, v[12:13], v[16:17] offset1:17
	v_mul_u32_u24_e32 v12, 34, v46
	v_add_u32_sdwa v12, v12, v45 dst_sel:DWORD dst_unused:UNUSED_PAD src0_sel:DWORD src1_sel:BYTE_0
	v_mul_f32_e32 v61, v18, v110
	v_lshl_add_u32 v147, v12, 3, v143
	v_mul_u32_u24_e32 v12, 34, v49
	v_fmac_f32_e32 v61, v19, v109
	v_sub_f32_e32 v18, v14, v25
	v_sub_f32_e32 v19, v15, v57
	;; [unrolled: 1-line block ×4, first 2 shown]
	v_add_u32_sdwa v12, v12, v48 dst_sel:DWORD dst_unused:UNUSED_PAD src0_sel:DWORD src1_sel:BYTE_0
	v_fma_f32 v14, v14, 2.0, -v18
	v_fma_f32 v15, v15, 2.0, -v19
	;; [unrolled: 1-line block ×4, first 2 shown]
	v_lshl_add_u32 v149, v12, 3, v143
	v_mul_f32_e32 v56, v22, v114
	ds_write2_b64 v147, v[14:15], v[18:19] offset1:17
	ds_write2_b64 v149, v[8:9], v[20:21] offset1:17
	v_mad_legacy_u16 v8, v50, 34, v36
	v_fmac_f32_e32 v56, v23, v113
	v_sub_f32_e32 v22, v10, v28
	v_sub_f32_e32 v23, v11, v29
	;; [unrolled: 1-line block ×4, first 2 shown]
	v_lshl_add_u32 v150, v8, 3, v143
	v_mad_legacy_u16 v8, v43, 34, v37
	v_fma_f32 v10, v10, 2.0, -v22
	v_fma_f32 v11, v11, 2.0, -v23
	;; [unrolled: 1-line block ×4, first 2 shown]
	v_lshl_add_u32 v151, v8, 3, v143
	ds_write2_b64 v150, v[10:11], v[22:23] offset1:17
	ds_write2_b64 v151, v[4:5], v[24:25] offset1:17
	v_mad_legacy_u16 v4, v47, 34, v38
	v_sub_f32_e32 v26, v6, v54
	v_sub_f32_e32 v27, v7, v56
	;; [unrolled: 1-line block ×4, first 2 shown]
	v_lshl_add_u32 v152, v4, 3, v143
	v_mad_legacy_u16 v4, v52, 34, v39
	v_fma_f32 v6, v6, 2.0, -v26
	v_fma_f32 v7, v7, 2.0, -v27
	;; [unrolled: 1-line block ×4, first 2 shown]
	v_lshl_add_u32 v154, v4, 3, v143
	v_sub_f32_e32 v30, v2, v60
	v_sub_f32_e32 v31, v3, v61
	ds_write2_b64 v152, v[6:7], v[26:27] offset1:17
	ds_write2_b64 v154, v[0:1], v[28:29] offset1:17
	v_mad_legacy_u16 v0, v51, 34, v40
	v_fma_f32 v2, v2, 2.0, -v30
	v_fma_f32 v3, v3, 2.0, -v31
	v_sub_f32_e32 v135, v32, v62
	v_lshl_add_u32 v155, v0, 3, v143
	ds_write2_b64 v155, v[2:3], v[30:31] offset1:17
	s_and_saveexec_b64 s[12:13], s[0:1]
	s_cbranch_execz .LBB0_5
; %bb.4:
	v_fma_f32 v1, v33, 2.0, -v136
	v_fma_f32 v0, v32, 2.0, -v135
	v_lshl_add_u32 v2, v153, 3, v143
	ds_write2_b64 v2, v[0:1], v[135:136] offset1:17
.LBB0_5:
	s_or_b64 exec, exec, s[12:13]
	s_movk_i32 s8, 0xffde
	v_add_co_u32_e32 v137, vcc, s8, v142
	v_addc_co_u32_e64 v138, s[12:13], 0, -1, vcc
	v_cndmask_b32_e64 v33, v138, 0, s[0:1]
	v_cndmask_b32_e64 v32, v137, v142, s[0:1]
	v_lshlrev_b64 v[0:1], 7, v[32:33]
	v_mov_b32_e32 v2, s11
	v_add_co_u32_e32 v33, vcc, s10, v0
	v_addc_co_u32_e32 v34, vcc, v2, v1, vcc
	s_waitcnt lgkmcnt(0)
	s_barrier
	global_load_dwordx4 v[24:27], v[33:34], off offset:136
	global_load_dwordx4 v[16:19], v[33:34], off offset:152
	;; [unrolled: 1-line block ×8, first 2 shown]
	ds_read2_b64 v[50:53], v141 offset1:68
	ds_read2_b64 v[54:57], v141 offset0:136 offset1:204
	v_add_u32_e32 v157, 0x800, v141
	v_add_u32_e32 v37, 0x1000, v141
	;; [unrolled: 1-line block ×3, first 2 shown]
	ds_read_b64 v[33:34], v141 offset:8704
	ds_read2_b64 v[58:61], v157 offset0:16 offset1:84
	ds_read2_b64 v[120:123], v157 offset0:152 offset1:220
	;; [unrolled: 1-line block ×6, first 2 shown]
	s_mov_b32 s15, 0x3f6eb680
	s_mov_b32 s13, 0x3f3d2fb0
	s_mov_b32 s12, 0x3ee437d1
	s_mov_b32 s8, 0x3dbcf732
	s_mov_b32 s14, 0xbe8c1d8e
	s_mov_b32 s18, 0xbf1a4643
	s_mov_b32 s19, 0xbf59a7d5
	s_mov_b32 s20, 0xbf7ba420
	v_cmp_lt_u16_e32 vcc, 33, v142
	s_waitcnt vmcnt(0) lgkmcnt(0)
	s_barrier
	v_mul_f32_e32 v39, v53, v25
	v_mul_f32_e32 v62, v52, v25
	;; [unrolled: 1-line block ×7, first 2 shown]
	v_fma_f32 v52, v52, v24, -v39
	v_fmac_f32_e32 v45, v121, v10
	v_mul_f32_e32 v121, v34, v7
	v_mul_f32_e32 v63, v54, v27
	;; [unrolled: 1-line block ×3, first 2 shown]
	v_fmac_f32_e32 v62, v53, v24
	v_fma_f32 v53, v54, v26, -v40
	v_fma_f32 v54, v56, v16, -v43
	;; [unrolled: 1-line block ×4, first 2 shown]
	v_mul_f32_e32 v122, v33, v7
	v_add_f32_e32 v33, v50, v52
	v_mul_f32_e32 v132, v56, v17
	v_mul_f32_e32 v44, v59, v19
	v_fmac_f32_e32 v63, v55, v26
	v_fmac_f32_e32 v122, v34, v6
	v_add_f32_e32 v34, v51, v62
	v_add_f32_e32 v33, v33, v53
	v_mul_f32_e32 v133, v58, v19
	v_mul_f32_e32 v47, v61, v9
	v_fmac_f32_e32 v132, v57, v16
	v_fma_f32 v55, v58, v18, -v44
	v_add_f32_e32 v34, v34, v63
	v_add_f32_e32 v33, v33, v54
	v_mul_f32_e32 v49, v60, v9
	v_fmac_f32_e32 v133, v59, v18
	v_fma_f32 v56, v60, v8, -v47
	v_add_f32_e32 v34, v34, v132
	v_add_f32_e32 v33, v33, v55
	v_fmac_f32_e32 v49, v61, v8
	v_fma_f32 v47, v120, v10, -v48
	v_add_f32_e32 v34, v34, v133
	v_add_f32_e32 v33, v33, v56
	v_mul_f32_e32 v139, v125, v3
	v_add_f32_e32 v34, v34, v49
	v_add_f32_e32 v33, v33, v47
	v_mul_f32_e32 v35, v124, v3
	v_mul_f32_e32 v140, v127, v29
	v_fmac_f32_e32 v41, v123, v0
	v_fma_f32 v39, v124, v2, -v139
	v_add_f32_e32 v34, v34, v45
	v_add_f32_e32 v33, v33, v43
	v_mul_f32_e32 v38, v126, v29
	v_mul_f32_e32 v148, v129, v31
	v_fmac_f32_e32 v35, v125, v2
	v_fma_f32 v40, v126, v28, -v140
	;; [unrolled: 6-line block ×5, first 2 shown]
	v_add_f32_e32 v34, v34, v42
	v_add_f32_e32 v33, v33, v48
	v_mul_f32_e32 v169, v160, v13
	v_fmac_f32_e32 v167, v159, v22
	v_fma_f32 v58, v160, v12, -v168
	v_mul_f32_e32 v59, v163, v15
	v_add_f32_e32 v34, v34, v46
	v_add_f32_e32 v33, v33, v57
	v_fmac_f32_e32 v169, v161, v12
	v_fma_f32 v59, v162, v14, -v59
	v_mul_f32_e32 v60, v162, v15
	v_mul_f32_e32 v61, v165, v5
	v_add_f32_e32 v34, v34, v167
	v_add_f32_e32 v33, v33, v58
	;; [unrolled: 1-line block ×3, first 2 shown]
	v_sub_f32_e32 v52, v52, v121
	v_fmac_f32_e32 v60, v163, v14
	v_fma_f32 v61, v164, v4, -v61
	v_mul_f32_e32 v120, v164, v5
	v_add_f32_e32 v34, v34, v169
	v_add_f32_e32 v33, v33, v59
	v_mul_f32_e32 v125, 0xbeb8f4ab, v52
	v_mul_f32_e32 v129, 0xbf2c7751, v52
	;; [unrolled: 1-line block ×8, first 2 shown]
	v_fmac_f32_e32 v120, v165, v4
	v_add_f32_e32 v34, v34, v60
	v_add_f32_e32 v33, v33, v61
	;; [unrolled: 1-line block ×3, first 2 shown]
	v_sub_f32_e32 v62, v62, v122
	v_mov_b32_e32 v126, v125
	v_mov_b32_e32 v130, v129
	v_mov_b32_e32 v140, v139
	v_mov_b32_e32 v159, v158
	v_mov_b32_e32 v163, v162
	v_mov_b32_e32 v168, v166
	v_mov_b32_e32 v173, v172
	v_mov_b32_e32 v175, v52
	v_add_f32_e32 v34, v34, v120
	v_add_f32_e32 v33, v33, v121
	v_mul_f32_e32 v121, 0xbeb8f4ab, v62
	v_fmac_f32_e32 v126, 0x3f6eb680, v124
	v_fma_f32 v125, v124, s15, -v125
	v_mul_f32_e32 v127, 0xbf2c7751, v62
	v_fmac_f32_e32 v130, 0x3f3d2fb0, v124
	v_fma_f32 v129, v124, s13, -v129
	;; [unrolled: 3-line block ×8, first 2 shown]
	v_add_f32_e32 v34, v34, v122
	v_fma_f32 v122, v123, s15, -v121
	v_add_f32_e32 v126, v51, v126
	v_fmac_f32_e32 v121, 0x3f6eb680, v123
	v_add_f32_e32 v125, v51, v125
	v_fma_f32 v128, v123, s13, -v127
	v_add_f32_e32 v130, v51, v130
	v_fmac_f32_e32 v127, 0x3f3d2fb0, v123
	;; [unrolled: 4-line block ×8, first 2 shown]
	v_add_f32_e32 v51, v51, v52
	v_add_f32_e32 v52, v53, v61
	v_sub_f32_e32 v53, v53, v61
	v_sub_f32_e32 v61, v63, v120
	v_add_f32_e32 v122, v50, v122
	v_add_f32_e32 v121, v50, v121
	;; [unrolled: 1-line block ×17, first 2 shown]
	v_mul_f32_e32 v63, 0xbf2c7751, v61
	v_fma_f32 v120, v52, s13, -v63
	v_add_f32_e32 v120, v120, v122
	v_mul_f32_e32 v122, 0xbf2c7751, v53
	v_fmac_f32_e32 v63, 0x3f3d2fb0, v52
	v_mov_b32_e32 v123, v122
	v_add_f32_e32 v63, v63, v121
	v_fma_f32 v121, v62, s13, -v122
	v_mul_f32_e32 v122, 0xbf7ee86f, v61
	v_fmac_f32_e32 v123, 0x3f3d2fb0, v62
	v_add_f32_e32 v121, v121, v125
	v_fma_f32 v124, v52, s8, -v122
	v_mul_f32_e32 v125, 0xbf7ee86f, v53
	v_fmac_f32_e32 v122, 0x3dbcf732, v52
	v_add_f32_e32 v123, v123, v126
	v_mov_b32_e32 v126, v125
	v_add_f32_e32 v122, v122, v127
	v_fma_f32 v125, v62, s8, -v125
	v_mul_f32_e32 v127, 0xbf4c4adb, v61
	v_add_f32_e32 v124, v124, v128
	v_fmac_f32_e32 v126, 0x3dbcf732, v62
	v_add_f32_e32 v125, v125, v129
	v_fma_f32 v128, v52, s18, -v127
	v_mul_f32_e32 v129, 0xbf4c4adb, v53
	v_fmac_f32_e32 v127, 0xbf1a4643, v52
	v_add_f32_e32 v126, v126, v130
	v_mov_b32_e32 v130, v129
	v_add_f32_e32 v127, v127, v131
	v_fma_f32 v129, v62, s18, -v129
	v_mul_f32_e32 v131, 0xbe3c28d5, v61
	v_add_f32_e32 v128, v128, v134
	;; [unrolled: 11-line block ×5, first 2 shown]
	v_add_f32_e32 v162, v162, v166
	v_fma_f32 v165, v52, s12, -v164
	v_mul_f32_e32 v166, 0x3f65296c, v53
	v_fmac_f32_e32 v164, 0x3ee437d1, v52
	v_mul_f32_e32 v61, 0x3eb8f4ab, v61
	v_mul_f32_e32 v53, 0x3eb8f4ab, v53
	v_add_f32_e32 v164, v164, v170
	v_fma_f32 v170, v52, s15, -v61
	v_fmac_f32_e32 v61, 0x3f6eb680, v52
	v_fma_f32 v52, v62, s15, -v53
	v_fmac_f32_e32 v163, 0xbe8c1d8e, v62
	v_add_f32_e32 v51, v52, v51
	v_add_f32_e32 v52, v54, v59
	v_sub_f32_e32 v54, v54, v59
	v_sub_f32_e32 v59, v132, v60
	v_add_f32_e32 v163, v163, v168
	v_add_f32_e32 v165, v165, v171
	v_mov_b32_e32 v168, v166
	v_mov_b32_e32 v171, v53
	v_add_f32_e32 v53, v132, v60
	v_mul_f32_e32 v60, 0xbf65296c, v59
	v_fmac_f32_e32 v168, 0x3ee437d1, v62
	v_fma_f32 v166, v62, s12, -v166
	v_fmac_f32_e32 v171, 0x3f6eb680, v62
	v_add_f32_e32 v50, v61, v50
	v_fma_f32 v61, v52, s12, -v60
	v_mul_f32_e32 v62, 0xbf65296c, v54
	v_add_f32_e32 v61, v61, v120
	v_mov_b32_e32 v120, v62
	v_fmac_f32_e32 v60, 0x3ee437d1, v52
	v_fmac_f32_e32 v120, 0x3ee437d1, v53
	v_add_f32_e32 v60, v60, v63
	v_fma_f32 v62, v53, s12, -v62
	v_mul_f32_e32 v63, 0xbf4c4adb, v59
	v_add_f32_e32 v120, v120, v123
	v_add_f32_e32 v62, v62, v121
	v_fma_f32 v121, v52, s18, -v63
	v_mul_f32_e32 v123, 0xbf4c4adb, v54
	v_add_f32_e32 v121, v121, v124
	v_mov_b32_e32 v124, v123
	v_fmac_f32_e32 v63, 0xbf1a4643, v52
	v_fmac_f32_e32 v124, 0xbf1a4643, v53
	v_add_f32_e32 v63, v63, v122
	v_fma_f32 v122, v53, s18, -v123
	v_mul_f32_e32 v123, 0x3e3c28d5, v59
	v_add_f32_e32 v124, v124, v126
	v_add_f32_e32 v122, v122, v125
	v_fma_f32 v125, v52, s20, -v123
	v_mul_f32_e32 v126, 0x3e3c28d5, v54
	v_add_f32_e32 v125, v125, v128
	v_mov_b32_e32 v128, v126
	v_fmac_f32_e32 v123, 0xbf7ba420, v52
	v_fmac_f32_e32 v128, 0xbf7ba420, v53
	v_add_f32_e32 v123, v123, v127
	v_fma_f32 v126, v53, s20, -v126
	v_mul_f32_e32 v127, 0x3f763a35, v59
	v_add_f32_e32 v128, v128, v130
	v_add_f32_e32 v126, v126, v129
	v_fma_f32 v129, v52, s14, -v127
	v_mul_f32_e32 v130, 0x3f763a35, v54
	v_fmac_f32_e32 v127, 0xbe8c1d8e, v52
	v_mov_b32_e32 v132, v130
	v_add_f32_e32 v127, v127, v131
	v_fma_f32 v130, v53, s14, -v130
	v_mul_f32_e32 v131, 0x3f2c7751, v59
	v_add_f32_e32 v129, v129, v134
	v_fmac_f32_e32 v132, 0xbe8c1d8e, v53
	v_add_f32_e32 v130, v130, v139
	v_fma_f32 v134, v52, s13, -v131
	v_mul_f32_e32 v139, 0x3f2c7751, v54
	v_fmac_f32_e32 v131, 0x3f3d2fb0, v52
	v_add_f32_e32 v132, v132, v140
	v_mov_b32_e32 v140, v139
	v_add_f32_e32 v131, v131, v148
	v_fma_f32 v139, v53, s13, -v139
	v_mul_f32_e32 v148, 0xbeb8f4ab, v59
	v_add_f32_e32 v134, v134, v156
	v_fmac_f32_e32 v140, 0x3f3d2fb0, v53
	v_add_f32_e32 v139, v139, v158
	v_fma_f32 v156, v52, s15, -v148
	v_mul_f32_e32 v158, 0xbeb8f4ab, v54
	v_fmac_f32_e32 v148, 0x3f6eb680, v52
	v_add_f32_e32 v140, v140, v159
	v_mov_b32_e32 v159, v158
	v_add_f32_e32 v148, v148, v160
	v_fma_f32 v158, v53, s15, -v158
	v_mul_f32_e32 v160, 0xbf7ee86f, v59
	v_add_f32_e32 v156, v156, v161
	v_add_f32_e32 v158, v158, v162
	v_fma_f32 v161, v52, s8, -v160
	v_mul_f32_e32 v162, 0xbf7ee86f, v54
	v_fmac_f32_e32 v160, 0x3dbcf732, v52
	v_mul_f32_e32 v59, 0xbf06c442, v59
	v_mul_f32_e32 v54, 0xbf06c442, v54
	v_add_f32_e32 v160, v160, v164
	v_fma_f32 v164, v52, s19, -v59
	v_fmac_f32_e32 v59, 0xbf59a7d5, v52
	v_fma_f32 v52, v53, s19, -v54
	v_add_f32_e32 v161, v161, v165
	v_mov_b32_e32 v165, v54
	v_add_f32_e32 v51, v52, v51
	v_add_f32_e32 v52, v55, v58
	v_sub_f32_e32 v54, v55, v58
	v_sub_f32_e32 v55, v133, v169
	v_fmac_f32_e32 v159, 0x3f6eb680, v53
	v_mul_f32_e32 v58, 0xbf7ee86f, v55
	v_add_f32_e32 v159, v159, v163
	v_mov_b32_e32 v163, v162
	v_add_f32_e32 v50, v59, v50
	v_fma_f32 v59, v52, s8, -v58
	v_fmac_f32_e32 v163, 0x3dbcf732, v53
	v_fma_f32 v162, v53, s8, -v162
	v_fmac_f32_e32 v165, 0xbf59a7d5, v53
	v_add_f32_e32 v53, v133, v169
	v_add_f32_e32 v59, v59, v61
	v_mul_f32_e32 v61, 0xbf7ee86f, v54
	v_fmac_f32_e32 v58, 0x3dbcf732, v52
	v_mov_b32_e32 v133, v61
	v_add_f32_e32 v58, v58, v60
	v_fma_f32 v60, v53, s8, -v61
	v_mul_f32_e32 v61, 0xbe3c28d5, v55
	v_add_f32_e32 v60, v60, v62
	v_fma_f32 v62, v52, s20, -v61
	v_fmac_f32_e32 v133, 0x3dbcf732, v53
	v_add_f32_e32 v62, v62, v121
	v_mul_f32_e32 v121, 0xbe3c28d5, v54
	v_fmac_f32_e32 v61, 0xbf7ba420, v52
	v_add_f32_e32 v120, v133, v120
	v_mov_b32_e32 v133, v121
	v_add_f32_e32 v61, v61, v63
	v_fma_f32 v63, v53, s20, -v121
	v_mul_f32_e32 v121, 0x3f763a35, v55
	v_add_f32_e32 v63, v63, v122
	v_fma_f32 v122, v52, s14, -v121
	v_fmac_f32_e32 v133, 0xbf7ba420, v53
	v_add_f32_e32 v122, v122, v125
	v_mul_f32_e32 v125, 0x3f763a35, v54
	v_fmac_f32_e32 v121, 0xbe8c1d8e, v52
	v_add_f32_e32 v124, v133, v124
	v_mov_b32_e32 v133, v125
	v_add_f32_e32 v121, v121, v123
	v_fma_f32 v123, v53, s14, -v125
	v_mul_f32_e32 v125, 0x3eb8f4ab, v55
	v_add_f32_e32 v123, v123, v126
	v_fma_f32 v126, v52, s15, -v125
	v_fmac_f32_e32 v133, 0xbe8c1d8e, v53
	v_add_f32_e32 v126, v126, v129
	v_mul_f32_e32 v129, 0x3eb8f4ab, v54
	v_add_f32_e32 v128, v133, v128
	v_mov_b32_e32 v133, v129
	v_fmac_f32_e32 v125, 0x3f6eb680, v52
	v_fmac_f32_e32 v133, 0x3f6eb680, v53
	v_add_f32_e32 v125, v125, v127
	v_fma_f32 v127, v53, s15, -v129
	v_mul_f32_e32 v129, 0xbf65296c, v55
	v_add_f32_e32 v132, v133, v132
	v_add_f32_e32 v127, v127, v130
	v_fma_f32 v130, v52, s12, -v129
	v_mul_f32_e32 v133, 0xbf65296c, v54
	v_add_f32_e32 v130, v130, v134
	v_mov_b32_e32 v134, v133
	v_fmac_f32_e32 v129, 0x3ee437d1, v52
	v_fmac_f32_e32 v134, 0x3ee437d1, v53
	v_add_f32_e32 v129, v129, v131
	v_fma_f32 v131, v53, s12, -v133
	v_mul_f32_e32 v133, 0xbf06c442, v55
	v_add_f32_e32 v134, v134, v140
	v_add_f32_e32 v131, v131, v139
	v_fma_f32 v139, v52, s19, -v133
	v_mul_f32_e32 v140, 0xbf06c442, v54
	v_add_f32_e32 v139, v139, v156
	v_mov_b32_e32 v156, v140
	v_fmac_f32_e32 v133, 0xbf59a7d5, v52
	v_fmac_f32_e32 v156, 0xbf59a7d5, v53
	v_add_f32_e32 v133, v133, v148
	v_fma_f32 v140, v53, s19, -v140
	v_mul_f32_e32 v148, 0x3f4c4adb, v55
	v_add_f32_e32 v166, v166, v172
	v_add_f32_e32 v156, v156, v159
	;; [unrolled: 1-line block ×3, first 2 shown]
	v_fma_f32 v158, v52, s18, -v148
	v_mul_f32_e32 v159, 0x3f4c4adb, v54
	v_add_f32_e32 v162, v162, v166
	v_add_f32_e32 v158, v158, v161
	v_mov_b32_e32 v161, v159
	v_fma_f32 v159, v53, s18, -v159
	v_mul_f32_e32 v54, 0x3f2c7751, v54
	v_fmac_f32_e32 v148, 0xbf1a4643, v52
	v_add_f32_e32 v159, v159, v162
	v_mul_f32_e32 v55, 0x3f2c7751, v55
	v_mov_b32_e32 v162, v54
	v_fmac_f32_e32 v161, 0xbf1a4643, v53
	v_add_f32_e32 v148, v148, v160
	v_fma_f32 v160, v52, s13, -v55
	v_fmac_f32_e32 v162, 0x3f3d2fb0, v53
	v_fmac_f32_e32 v55, 0x3f3d2fb0, v52
	v_fma_f32 v52, v53, s13, -v54
	v_add_f32_e32 v53, v49, v167
	v_sub_f32_e32 v49, v49, v167
	v_add_f32_e32 v50, v55, v50
	v_add_f32_e32 v51, v52, v51
	;; [unrolled: 1-line block ×3, first 2 shown]
	v_sub_f32_e32 v54, v56, v57
	v_mul_f32_e32 v55, 0xbf763a35, v49
	v_fma_f32 v56, v52, s14, -v55
	v_mul_f32_e32 v57, 0xbf763a35, v54
	v_fmac_f32_e32 v55, 0xbe8c1d8e, v52
	v_add_f32_e32 v56, v56, v59
	v_mov_b32_e32 v59, v57
	v_add_f32_e32 v55, v55, v58
	v_fma_f32 v57, v53, s14, -v57
	v_mul_f32_e32 v58, 0x3f06c442, v49
	v_add_f32_e32 v57, v57, v60
	v_fma_f32 v60, v52, s19, -v58
	v_fmac_f32_e32 v59, 0xbe8c1d8e, v53
	v_add_f32_e32 v60, v60, v62
	v_mul_f32_e32 v62, 0x3f06c442, v54
	v_fmac_f32_e32 v58, 0xbf59a7d5, v52
	v_add_f32_e32 v59, v59, v120
	v_mov_b32_e32 v120, v62
	v_add_f32_e32 v58, v58, v61
	v_fma_f32 v61, v53, s19, -v62
	v_mul_f32_e32 v62, 0x3f2c7751, v49
	v_add_f32_e32 v61, v61, v63
	v_fma_f32 v63, v52, s13, -v62
	v_fmac_f32_e32 v120, 0xbf59a7d5, v53
	v_add_f32_e32 v63, v63, v122
	;; [unrolled: 11-line block ×4, first 2 shown]
	v_mul_f32_e32 v130, 0xbe3c28d5, v54
	v_add_f32_e32 v128, v128, v132
	v_mov_b32_e32 v132, v130
	v_fmac_f32_e32 v126, 0xbf7ba420, v52
	v_fmac_f32_e32 v132, 0xbf7ba420, v53
	v_add_f32_e32 v126, v126, v129
	v_fma_f32 v129, v53, s20, -v130
	v_mul_f32_e32 v130, 0x3f7ee86f, v49
	v_add_f32_e32 v132, v132, v134
	v_add_f32_e32 v129, v129, v131
	v_fma_f32 v131, v52, s8, -v130
	v_mul_f32_e32 v134, 0x3f7ee86f, v54
	v_add_f32_e32 v131, v131, v139
	v_mov_b32_e32 v139, v134
	v_fmac_f32_e32 v130, 0x3dbcf732, v52
	v_fmac_f32_e32 v139, 0x3dbcf732, v53
	v_add_f32_e32 v130, v130, v133
	v_fma_f32 v133, v53, s8, -v134
	v_mul_f32_e32 v134, 0xbeb8f4ab, v49
	v_add_f32_e32 v139, v139, v156
	v_add_f32_e32 v133, v133, v140
	v_fma_f32 v140, v52, s15, -v134
	v_mul_f32_e32 v156, 0xbeb8f4ab, v54
	v_fmac_f32_e32 v134, 0x3f6eb680, v52
	v_mul_f32_e32 v49, 0xbf4c4adb, v49
	v_add_f32_e32 v140, v140, v158
	v_mov_b32_e32 v158, v156
	v_add_f32_e32 v134, v134, v148
	v_fma_f32 v148, v53, s15, -v156
	v_fma_f32 v156, v52, s18, -v49
	v_mul_f32_e32 v54, 0xbf4c4adb, v54
	v_fmac_f32_e32 v49, 0xbf1a4643, v52
	v_add_f32_e32 v49, v49, v50
	v_fma_f32 v50, v53, s18, -v54
	v_add_f32_e32 v52, v45, v46
	v_sub_f32_e32 v45, v45, v46
	v_add_f32_e32 v148, v148, v159
	v_mov_b32_e32 v159, v54
	v_add_f32_e32 v50, v50, v51
	v_add_f32_e32 v51, v47, v48
	v_sub_f32_e32 v47, v47, v48
	v_mul_f32_e32 v46, 0xbf4c4adb, v45
	v_fmac_f32_e32 v158, 0x3f6eb680, v53
	v_fmac_f32_e32 v159, 0xbf1a4643, v53
	v_fma_f32 v48, v51, s18, -v46
	v_mul_f32_e32 v53, 0xbf4c4adb, v47
	v_fmac_f32_e32 v46, 0xbf1a4643, v51
	v_mov_b32_e32 v54, v53
	v_add_f32_e32 v46, v46, v55
	v_fma_f32 v53, v52, s18, -v53
	v_mul_f32_e32 v55, 0x3f763a35, v45
	v_add_f32_e32 v48, v48, v56
	v_fmac_f32_e32 v54, 0xbf1a4643, v52
	v_add_f32_e32 v53, v53, v57
	v_fma_f32 v56, v51, s14, -v55
	v_mul_f32_e32 v57, 0x3f763a35, v47
	v_fmac_f32_e32 v55, 0xbe8c1d8e, v51
	v_add_f32_e32 v54, v54, v59
	v_mov_b32_e32 v59, v57
	v_add_f32_e32 v55, v55, v58
	v_fma_f32 v57, v52, s14, -v57
	v_mul_f32_e32 v58, 0xbeb8f4ab, v45
	v_add_f32_e32 v56, v56, v60
	v_add_f32_e32 v57, v57, v61
	v_fma_f32 v60, v51, s15, -v58
	v_mul_f32_e32 v61, 0xbeb8f4ab, v47
	v_fmac_f32_e32 v58, 0x3f6eb680, v51
	v_fmac_f32_e32 v59, 0xbe8c1d8e, v52
	v_add_f32_e32 v60, v60, v63
	v_mov_b32_e32 v63, v61
	v_add_f32_e32 v58, v58, v62
	v_fma_f32 v61, v52, s15, -v61
	v_mul_f32_e32 v62, 0xbf06c442, v45
	v_add_f32_e32 v59, v59, v120
	v_add_f32_e32 v61, v61, v121
	v_fma_f32 v120, v51, s19, -v62
	v_mul_f32_e32 v121, 0xbf06c442, v47
	v_fmac_f32_e32 v62, 0xbf59a7d5, v51
	;; [unrolled: 11-line block ×4, first 2 shown]
	v_fmac_f32_e32 v127, 0x3dbcf732, v52
	v_add_f32_e32 v128, v128, v131
	v_mov_b32_e32 v131, v129
	v_add_f32_e32 v126, v126, v130
	v_fma_f32 v129, v52, s13, -v129
	v_mul_f32_e32 v130, 0xbe3c28d5, v45
	v_add_f32_e32 v127, v127, v132
	v_add_f32_e32 v129, v129, v133
	v_fma_f32 v132, v51, s20, -v130
	v_mul_f32_e32 v133, 0xbe3c28d5, v47
	v_mul_f32_e32 v47, 0x3f65296c, v47
	v_add_f32_e32 v132, v132, v140
	v_fmac_f32_e32 v130, 0xbf7ba420, v51
	v_mul_f32_e32 v45, 0x3f65296c, v45
	v_mov_b32_e32 v140, v47
	v_fma_f32 v47, v52, s12, -v47
	v_add_f32_e32 v130, v130, v134
	v_fma_f32 v134, v51, s12, -v45
	v_fmac_f32_e32 v45, 0x3ee437d1, v51
	v_add_f32_e32 v47, v47, v50
	v_add_f32_e32 v50, v41, v42
	v_sub_f32_e32 v41, v41, v42
	v_add_f32_e32 v45, v45, v49
	v_add_f32_e32 v49, v43, v44
	v_mul_f32_e32 v42, 0xbf06c442, v41
	v_sub_f32_e32 v43, v43, v44
	v_fma_f32 v44, v49, s19, -v42
	v_fmac_f32_e32 v131, 0x3f3d2fb0, v52
	v_add_f32_e32 v44, v44, v48
	v_mul_f32_e32 v48, 0xbf06c442, v43
	v_fmac_f32_e32 v42, 0xbf59a7d5, v49
	v_add_f32_e32 v131, v131, v139
	v_mov_b32_e32 v139, v133
	v_mov_b32_e32 v51, v48
	v_add_f32_e32 v42, v42, v46
	v_fma_f32 v46, v50, s19, -v48
	v_mul_f32_e32 v48, 0x3f65296c, v41
	v_fmac_f32_e32 v139, 0xbf7ba420, v52
	v_fma_f32 v133, v52, s20, -v133
	v_fmac_f32_e32 v140, 0x3ee437d1, v52
	v_fmac_f32_e32 v51, 0xbf59a7d5, v50
	v_add_f32_e32 v46, v46, v53
	v_fma_f32 v52, v49, s12, -v48
	v_mul_f32_e32 v53, 0x3f65296c, v43
	v_fmac_f32_e32 v48, 0x3ee437d1, v49
	v_add_f32_e32 v51, v51, v54
	v_mov_b32_e32 v54, v53
	v_add_f32_e32 v48, v48, v55
	v_fma_f32 v53, v50, s12, -v53
	v_mul_f32_e32 v55, 0xbf7ee86f, v41
	v_add_f32_e32 v52, v52, v56
	v_fmac_f32_e32 v54, 0x3ee437d1, v50
	v_add_f32_e32 v53, v53, v57
	v_fma_f32 v56, v49, s8, -v55
	v_mul_f32_e32 v57, 0xbf7ee86f, v43
	v_fmac_f32_e32 v55, 0x3dbcf732, v49
	v_add_f32_e32 v54, v54, v59
	v_mov_b32_e32 v59, v57
	v_add_f32_e32 v55, v55, v58
	v_fma_f32 v57, v50, s8, -v57
	v_mul_f32_e32 v58, 0x3f4c4adb, v41
	v_add_f32_e32 v56, v56, v60
	;; [unrolled: 11-line block ×3, first 2 shown]
	v_fmac_f32_e32 v63, 0xbf1a4643, v50
	v_add_f32_e32 v61, v61, v121
	v_fma_f32 v120, v49, s15, -v62
	v_mul_f32_e32 v121, 0xbeb8f4ab, v43
	v_fmac_f32_e32 v62, 0x3f6eb680, v49
	v_add_f32_e32 v170, v170, v174
	v_add_f32_e32 v63, v63, v123
	v_mov_b32_e32 v123, v121
	v_add_f32_e32 v62, v62, v122
	v_fma_f32 v121, v50, s15, -v121
	v_mul_f32_e32 v122, 0xbe3c28d5, v41
	v_add_f32_e32 v168, v168, v173
	v_add_f32_e32 v164, v164, v170
	;; [unrolled: 1-line block ×3, first 2 shown]
	v_fmac_f32_e32 v123, 0x3f6eb680, v50
	v_add_f32_e32 v121, v121, v125
	v_fma_f32 v124, v49, s20, -v122
	v_mul_f32_e32 v125, 0xbe3c28d5, v43
	v_fmac_f32_e32 v122, 0xbf7ba420, v49
	v_add_f32_e32 v163, v163, v168
	v_add_f32_e32 v160, v160, v164
	;; [unrolled: 1-line block ×3, first 2 shown]
	v_mov_b32_e32 v127, v125
	v_add_f32_e32 v122, v122, v126
	v_fma_f32 v125, v50, s20, -v125
	v_mul_f32_e32 v126, 0x3f2c7751, v41
	v_add_f32_e32 v171, v171, v175
	v_add_f32_e32 v161, v161, v163
	v_add_f32_e32 v156, v156, v160
	v_add_f32_e32 v124, v124, v128
	v_fmac_f32_e32 v127, 0xbf7ba420, v50
	v_add_f32_e32 v125, v125, v129
	v_fma_f32 v128, v49, s13, -v126
	v_mul_f32_e32 v129, 0x3f2c7751, v43
	v_fmac_f32_e32 v126, 0x3f3d2fb0, v49
	v_mul_f32_e32 v41, 0xbf763a35, v41
	v_add_f32_e32 v165, v165, v171
	v_add_f32_e32 v158, v158, v161
	;; [unrolled: 1-line block ×5, first 2 shown]
	v_mov_b32_e32 v131, v129
	v_add_f32_e32 v126, v126, v130
	v_fma_f32 v129, v50, s13, -v129
	v_fma_f32 v130, v49, s14, -v41
	v_mul_f32_e32 v43, 0xbf763a35, v43
	v_fmac_f32_e32 v41, 0xbe8c1d8e, v49
	v_add_f32_e32 v156, v35, v38
	v_sub_f32_e32 v35, v35, v38
	v_add_f32_e32 v162, v162, v165
	v_add_f32_e32 v139, v139, v158
	;; [unrolled: 1-line block ×4, first 2 shown]
	v_fma_f32 v41, v50, s14, -v43
	v_add_f32_e32 v148, v39, v40
	v_sub_f32_e32 v158, v39, v40
	v_mul_f32_e32 v40, 0xbe3c28d5, v35
	v_add_f32_e32 v159, v159, v162
	v_add_f32_e32 v128, v128, v132
	v_fmac_f32_e32 v131, 0x3f3d2fb0, v50
	v_add_f32_e32 v130, v130, v134
	v_mov_b32_e32 v132, v43
	v_add_f32_e32 v134, v41, v47
	v_fma_f32 v38, v148, s20, -v40
	v_mul_f32_e32 v41, 0xbe3c28d5, v158
	v_fmac_f32_e32 v40, 0xbf7ba420, v148
	v_add_f32_e32 v140, v140, v159
	v_add_f32_e32 v131, v131, v139
	v_fmac_f32_e32 v132, 0xbe8c1d8e, v50
	v_add_f32_e32 v139, v40, v42
	v_fma_f32 v40, v156, s20, -v41
	v_mul_f32_e32 v43, 0x3eb8f4ab, v158
	v_add_f32_e32 v132, v132, v140
	v_mov_b32_e32 v39, v41
	v_add_f32_e32 v140, v40, v46
	v_mov_b32_e32 v41, v43
	v_mul_f32_e32 v46, 0xbf06c442, v35
	v_add_f32_e32 v38, v38, v44
	v_mul_f32_e32 v42, 0x3eb8f4ab, v35
	v_fmac_f32_e32 v41, 0x3f6eb680, v156
	v_fma_f32 v44, v148, s19, -v46
	v_fmac_f32_e32 v46, 0xbf59a7d5, v148
	v_fma_f32 v40, v148, s15, -v42
	v_add_f32_e32 v41, v41, v54
	v_fmac_f32_e32 v42, 0x3f6eb680, v148
	v_fma_f32 v43, v156, s15, -v43
	v_add_f32_e32 v46, v46, v55
	v_mul_f32_e32 v50, 0x3f2c7751, v35
	v_mul_f32_e32 v54, 0xbf4c4adb, v35
	;; [unrolled: 1-line block ×3, first 2 shown]
	v_add_f32_e32 v40, v40, v52
	v_add_f32_e32 v42, v42, v48
	;; [unrolled: 1-line block ×3, first 2 shown]
	v_fma_f32 v48, v148, s13, -v50
	v_fmac_f32_e32 v50, 0x3f3d2fb0, v148
	v_fma_f32 v52, v148, s18, -v54
	v_mov_b32_e32 v53, v55
	v_fmac_f32_e32 v54, 0xbf1a4643, v148
	v_add_f32_e32 v50, v50, v58
	v_fmac_f32_e32 v53, 0xbf1a4643, v156
	v_add_f32_e32 v54, v54, v62
	v_mul_f32_e32 v58, 0x3f65296c, v35
	v_mul_f32_e32 v62, 0xbf763a35, v35
	v_mul_f32_e32 v35, 0x3f7ee86f, v35
	v_fmac_f32_e32 v39, 0xbf7ba420, v156
	v_add_f32_e32 v44, v44, v56
	v_add_f32_e32 v52, v52, v120
	;; [unrolled: 1-line block ×3, first 2 shown]
	v_fma_f32 v56, v148, s12, -v58
	v_fmac_f32_e32 v58, 0x3ee437d1, v148
	v_fma_f32 v120, v148, s8, -v35
	v_mul_f32_e32 v123, 0x3f7ee86f, v158
	v_fmac_f32_e32 v35, 0x3dbcf732, v148
	v_add_f32_e32 v39, v39, v51
	v_mul_f32_e32 v47, 0xbf06c442, v158
	v_mul_f32_e32 v51, 0x3f2c7751, v158
	v_fma_f32 v55, v156, s18, -v55
	v_add_f32_e32 v58, v58, v122
	v_add_f32_e32 v122, v35, v133
	v_fma_f32 v35, v156, s8, -v123
	v_mov_b32_e32 v45, v47
	v_mov_b32_e32 v49, v51
	v_add_f32_e32 v55, v55, v121
	v_mov_b32_e32 v121, v123
	v_add_f32_e32 v123, v35, v134
	v_mov_b32_e32 v35, 0x242
	v_fmac_f32_e32 v45, 0xbf59a7d5, v156
	v_fmac_f32_e32 v49, 0x3f3d2fb0, v156
	v_cndmask_b32_e32 v35, 0, v35, vcc
	v_add_f32_e32 v45, v45, v59
	v_fma_f32 v47, v156, s19, -v47
	v_add_f32_e32 v49, v49, v63
	v_fma_f32 v51, v156, s13, -v51
	v_mul_f32_e32 v59, 0x3f65296c, v158
	v_mul_f32_e32 v63, 0xbf763a35, v158
	v_add_u32_e32 v32, v32, v35
	v_add_f32_e32 v47, v47, v57
	v_add_f32_e32 v48, v48, v60
	;; [unrolled: 1-line block ×3, first 2 shown]
	v_mov_b32_e32 v57, v59
	v_fma_f32 v60, v148, s14, -v62
	v_mov_b32_e32 v61, v63
	v_fmac_f32_e32 v62, 0xbe8c1d8e, v148
	v_fmac_f32_e32 v121, 0x3dbcf732, v156
	v_lshl_add_u32 v148, v32, 3, v143
	v_fmac_f32_e32 v57, 0x3ee437d1, v156
	v_fma_f32 v59, v156, s12, -v59
	v_fmac_f32_e32 v61, 0xbe8c1d8e, v156
	v_fma_f32 v63, v156, s14, -v63
	v_add_f32_e32 v120, v120, v130
	v_add_f32_e32 v121, v121, v132
	v_add_u32_e32 v32, 0x800, v148
	v_add_f32_e32 v56, v56, v124
	v_add_f32_e32 v57, v57, v127
	;; [unrolled: 1-line block ×7, first 2 shown]
	ds_write2_b64 v148, v[33:34], v[38:39] offset1:34
	ds_write2_b64 v148, v[40:41], v[44:45] offset0:68 offset1:102
	ds_write2_b64 v148, v[48:49], v[52:53] offset0:136 offset1:170
	;; [unrolled: 1-line block ×7, first 2 shown]
	ds_write_b64 v148, v[139:140] offset:4352
	s_waitcnt lgkmcnt(0)
	s_barrier
	ds_read2_b64 v[32:35], v141 offset1:68
	ds_read2_b64 v[48:51], v37 offset0:66 offset1:134
	ds_read2_b64 v[40:43], v141 offset0:136 offset1:204
	v_add_u32_e32 v37, 0x1400, v141
	ds_read2_b64 v[52:55], v37 offset0:74 offset1:142
	ds_read2_b64 v[44:47], v157 offset0:16 offset1:84
	;; [unrolled: 1-line block ×4, first 2 shown]
	v_add_u32_e32 v158, 0x1c00, v141
	ds_read2_b64 v[60:63], v158 offset0:90 offset1:158
	s_movk_i32 s14, 0x1000
	s_and_saveexec_b64 s[12:13], s[0:1]
	s_cbranch_execz .LBB0_7
; %bb.6:
	ds_read_b64 v[139:140], v141 offset:4352
	ds_read_b64 v[135:136], v141 offset:8976
	v_mov_b32_e32 v138, v118
	v_mov_b32_e32 v137, v117
.LBB0_7:
	s_or_b64 exec, exec, s[12:13]
	v_mov_b32_e32 v156, s11
	v_add_co_u32_e32 v133, vcc, s10, v119
	v_addc_co_u32_e32 v134, vcc, 0, v156, vcc
	v_add_co_u32_e32 v117, vcc, 0x1000, v133
	v_addc_co_u32_e32 v118, vcc, 0, v134, vcc
	s_movk_i32 s8, 0x2000
	global_load_dwordx2 v[119:120], v[117:118], off offset:392
	global_load_dwordx2 v[121:122], v[117:118], off offset:936
	global_load_dwordx2 v[123:124], v[117:118], off offset:1480
	global_load_dwordx2 v[125:126], v[117:118], off offset:2024
	global_load_dwordx2 v[127:128], v[117:118], off offset:2568
	global_load_dwordx2 v[129:130], v[117:118], off offset:3112
	global_load_dwordx2 v[131:132], v[117:118], off offset:3656
	v_add_co_u32_e32 v117, vcc, s8, v133
	v_addc_co_u32_e32 v118, vcc, 0, v134, vcc
	global_load_dwordx2 v[133:134], v[117:118], off offset:104
	v_lshlrev_b64 v[117:118], 3, v[137:138]
	v_add_co_u32_e32 v117, vcc, s10, v117
	v_addc_co_u32_e32 v118, vcc, v156, v118, vcc
	v_add_co_u32_e32 v117, vcc, s14, v117
	v_addc_co_u32_e32 v118, vcc, 0, v118, vcc
	global_load_dwordx2 v[117:118], v[117:118], off offset:392
	s_waitcnt vmcnt(8) lgkmcnt(6)
	v_mul_f32_e32 v137, v49, v120
	v_mul_f32_e32 v138, v48, v120
	s_waitcnt vmcnt(7)
	v_mul_f32_e32 v156, v51, v122
	v_mul_f32_e32 v159, v50, v122
	s_waitcnt vmcnt(6) lgkmcnt(4)
	v_mul_f32_e32 v160, v53, v124
	v_mul_f32_e32 v161, v52, v124
	s_waitcnt vmcnt(5)
	v_mul_f32_e32 v162, v55, v126
	v_mul_f32_e32 v163, v54, v126
	;; [unrolled: 6-line block ×4, first 2 shown]
	v_fma_f32 v48, v48, v119, -v137
	v_fmac_f32_e32 v138, v49, v119
	v_fma_f32 v50, v50, v121, -v156
	v_fmac_f32_e32 v159, v51, v121
	;; [unrolled: 2-line block ×3, first 2 shown]
	s_waitcnt vmcnt(0)
	v_mul_f32_e32 v49, v136, v118
	v_mul_f32_e32 v137, v135, v118
	v_fma_f32 v54, v54, v125, -v162
	v_fmac_f32_e32 v163, v55, v125
	v_fma_f32 v56, v56, v127, -v164
	v_fmac_f32_e32 v165, v57, v127
	;; [unrolled: 2-line block ×6, first 2 shown]
	v_sub_f32_e32 v48, v32, v48
	v_sub_f32_e32 v49, v33, v138
	;; [unrolled: 1-line block ×18, first 2 shown]
	v_lshl_add_u32 v156, v142, 3, v143
	v_fma_f32 v32, v32, 2.0, -v48
	v_fma_f32 v33, v33, 2.0, -v49
	;; [unrolled: 1-line block ×16, first 2 shown]
	ds_write_b64 v156, v[48:49] offset:4624
	ds_write2_b64 v141, v[32:33], v[34:35] offset1:68
	ds_write_b64 v156, v[50:51] offset:5168
	ds_write_b64 v141, v[40:41] offset:1088
	;; [unrolled: 1-line block ×9, first 2 shown]
	ds_write2_b64 v157, v[36:37], v[38:39] offset0:152 offset1:220
	ds_write2_b64 v158, v[60:61], v[62:63] offset0:90 offset1:158
	s_and_saveexec_b64 s[10:11], s[0:1]
	s_cbranch_execz .LBB0_9
; %bb.8:
	v_fma_f32 v33, v140, 2.0, -v136
	v_fma_f32 v32, v139, 2.0, -v135
	ds_write_b64 v141, v[32:33] offset:4352
	ds_write_b64 v156, v[135:136] offset:8976
.LBB0_9:
	s_or_b64 exec, exec, s[10:11]
	v_mov_b32_e32 v32, s9
	v_addc_co_u32_e64 v35, vcc, 0, v32, s[2:3]
	v_add_co_u32_e32 v32, vcc, 0x2420, v144
	s_mov_b64 s[2:3], vcc
	v_add_co_u32_e32 v33, vcc, s8, v144
	v_addc_co_u32_e32 v34, vcc, 0, v35, vcc
	s_waitcnt lgkmcnt(0)
	s_barrier
	global_load_dwordx2 v[54:55], v[33:34], off offset:1056
	v_addc_co_u32_e64 v33, vcc, 0, v35, s[2:3]
	global_load_dwordx2 v[56:57], v[32:33], off offset:544
	global_load_dwordx2 v[58:59], v[32:33], off offset:1088
	;; [unrolled: 1-line block ×7, first 2 shown]
	s_movk_i32 s2, 0x3000
	v_add_co_u32_e32 v32, vcc, s2, v144
	v_addc_co_u32_e32 v33, vcc, 0, v35, vcc
	global_load_dwordx2 v[159:160], v[32:33], off offset:1312
	global_load_dwordx2 v[161:162], v[32:33], off offset:1856
	;; [unrolled: 1-line block ×6, first 2 shown]
	s_movk_i32 s2, 0x4000
	v_add_co_u32_e32 v44, vcc, s2, v144
	v_addc_co_u32_e32 v45, vcc, 0, v35, vcc
	global_load_dwordx2 v[171:172], v[44:45], off offset:480
	global_load_dwordx2 v[173:174], v[44:45], off offset:1024
	ds_read2_b64 v[32:35], v141 offset1:68
	ds_read2_b64 v[36:39], v141 offset0:136 offset1:204
	global_load_dwordx2 v[175:176], v[44:45], off offset:1568
	v_add_u32_e32 v48, 0x800, v141
	ds_read2_b64 v[40:43], v48 offset0:16 offset1:84
	v_add_u32_e32 v49, 0x1000, v141
	ds_read2_b64 v[44:47], v48 offset0:152 offset1:220
	ds_read2_b64 v[50:53], v49 offset0:32 offset1:100
	s_mov_b32 s10, 0x3f6eb680
	s_mov_b32 s8, 0x3f3d2fb0
	;; [unrolled: 1-line block ×8, first 2 shown]
	s_waitcnt vmcnt(15) lgkmcnt(4)
	v_mul_f32_e32 v179, v35, v57
	s_waitcnt vmcnt(14) lgkmcnt(3)
	v_mul_f32_e32 v180, v37, v59
	s_waitcnt vmcnt(13)
	v_mul_f32_e32 v181, v39, v61
	v_mul_f32_e32 v144, v33, v55
	;; [unrolled: 1-line block ×6, first 2 shown]
	s_waitcnt vmcnt(12) lgkmcnt(2)
	v_mul_f32_e32 v182, v41, v63
	v_mul_f32_e32 v61, v40, v63
	s_waitcnt vmcnt(11)
	v_mul_f32_e32 v183, v43, v138
	v_mul_f32_e32 v63, v42, v138
	s_waitcnt vmcnt(10) lgkmcnt(1)
	v_mul_f32_e32 v184, v45, v140
	v_mul_f32_e32 v138, v44, v140
	s_waitcnt vmcnt(9)
	v_mul_f32_e32 v185, v47, v158
	v_mul_f32_e32 v140, v46, v158
	v_fma_f32 v177, v32, v54, -v144
	v_fmac_f32_e32 v178, v33, v54
	v_fma_f32 v54, v34, v56, -v179
	v_fmac_f32_e32 v55, v35, v56
	;; [unrolled: 2-line block ×8, first 2 shown]
	ds_write2_b64 v141, v[177:178], v[54:55] offset1:68
	ds_write2_b64 v141, v[56:57], v[58:59] offset0:136 offset1:204
	ds_write2_b64 v48, v[60:61], v[62:63] offset0:16 offset1:84
	;; [unrolled: 1-line block ×3, first 2 shown]
	s_waitcnt vmcnt(8) lgkmcnt(4)
	v_mul_f32_e32 v32, v51, v160
	v_fma_f32 v36, v50, v159, -v32
	ds_read2_b64 v[32:35], v49 offset0:168 offset1:236
	v_mul_f32_e32 v37, v50, v160
	s_waitcnt vmcnt(7)
	v_mul_f32_e32 v38, v53, v162
	v_mul_f32_e32 v39, v52, v162
	v_fmac_f32_e32 v37, v51, v159
	v_fma_f32 v38, v52, v161, -v38
	v_fmac_f32_e32 v39, v53, v161
	ds_write2_b64 v49, v[36:37], v[38:39] offset0:32 offset1:100
	s_waitcnt vmcnt(6) lgkmcnt(1)
	v_mul_f32_e32 v36, v33, v164
	v_add_u32_e32 v50, 0x1800, v141
	v_fma_f32 v40, v32, v163, -v36
	ds_read2_b64 v[36:39], v50 offset0:48 offset1:116
	v_mul_f32_e32 v41, v32, v164
	v_fmac_f32_e32 v41, v33, v163
	s_waitcnt vmcnt(5)
	v_mul_f32_e32 v32, v35, v166
	v_mul_f32_e32 v33, v34, v166
	v_fma_f32 v32, v34, v165, -v32
	v_fmac_f32_e32 v33, v35, v165
	ds_write2_b64 v49, v[40:41], v[32:33] offset0:168 offset1:236
	s_waitcnt vmcnt(4) lgkmcnt(1)
	v_mul_f32_e32 v32, v37, v168
	v_fma_f32 v40, v36, v167, -v32
	ds_read2_b64 v[32:35], v50 offset0:184 offset1:252
	v_mul_f32_e32 v41, v36, v168
	v_fmac_f32_e32 v41, v37, v167
	s_waitcnt vmcnt(3)
	v_mul_f32_e32 v36, v39, v170
	v_mul_f32_e32 v37, v38, v170
	v_fma_f32 v36, v38, v169, -v36
	v_fmac_f32_e32 v37, v39, v169
	ds_write2_b64 v50, v[40:41], v[36:37] offset0:48 offset1:116
	s_waitcnt vmcnt(2) lgkmcnt(1)
	v_mul_f32_e32 v36, v33, v172
	v_mul_f32_e32 v37, v32, v172
	v_fma_f32 v36, v32, v171, -v36
	v_fmac_f32_e32 v37, v33, v171
	ds_read_b64 v[32:33], v141 offset:8704
	s_waitcnt vmcnt(1)
	v_mul_f32_e32 v38, v35, v174
	v_mul_f32_e32 v39, v34, v174
	v_fma_f32 v38, v34, v173, -v38
	v_fmac_f32_e32 v39, v35, v173
	s_waitcnt vmcnt(0) lgkmcnt(0)
	v_mul_f32_e32 v34, v33, v176
	v_mul_f32_e32 v35, v32, v176
	v_fma_f32 v34, v32, v175, -v34
	v_fmac_f32_e32 v35, v33, v175
	ds_write2_b64 v50, v[36:37], v[38:39] offset0:184 offset1:252
	ds_write_b64 v141, v[34:35] offset:8704
	s_waitcnt lgkmcnt(0)
	s_barrier
	ds_read2_b64 v[51:54], v141 offset1:68
	ds_read2_b64 v[55:58], v141 offset0:136 offset1:204
	ds_read2_b64 v[59:62], v48 offset0:16 offset1:84
	;; [unrolled: 1-line block ×7, first 2 shown]
	ds_read_b64 v[46:47], v141 offset:8704
	s_waitcnt lgkmcnt(8)
	v_add_f32_e32 v44, v51, v53
	v_add_f32_e32 v45, v52, v54
	s_waitcnt lgkmcnt(7)
	v_add_f32_e32 v44, v44, v55
	v_add_f32_e32 v45, v45, v56
	v_add_f32_e32 v44, v44, v57
	v_add_f32_e32 v45, v45, v58
	s_waitcnt lgkmcnt(6)
	v_add_f32_e32 v44, v44, v59
	v_add_f32_e32 v45, v45, v60
	;; [unrolled: 5-line block ×7, first 2 shown]
	s_waitcnt lgkmcnt(0)
	v_add_f32_e32 v144, v47, v54
	v_add_f32_e32 v44, v44, v159
	;; [unrolled: 1-line block ×3, first 2 shown]
	v_mul_f32_e32 v161, 0x3f6eb680, v144
	v_mul_f32_e32 v165, 0x3f3d2fb0, v144
	;; [unrolled: 1-line block ×8, first 2 shown]
	v_add_f32_e32 v44, v44, v46
	v_add_f32_e32 v45, v45, v47
	;; [unrolled: 1-line block ×3, first 2 shown]
	v_sub_f32_e32 v46, v53, v46
	v_sub_f32_e32 v47, v54, v47
	v_mov_b32_e32 v162, v161
	v_mov_b32_e32 v166, v165
	;; [unrolled: 1-line block ×8, first 2 shown]
	v_mul_f32_e32 v53, 0xbeb8f4ab, v47
	v_fmac_f32_e32 v162, 0x3eb8f4ab, v46
	v_fmac_f32_e32 v161, 0xbeb8f4ab, v46
	v_mul_f32_e32 v163, 0xbf2c7751, v47
	v_fmac_f32_e32 v166, 0x3f2c7751, v46
	v_fmac_f32_e32 v165, 0xbf2c7751, v46
	;; [unrolled: 3-line block ×8, first 2 shown]
	v_mov_b32_e32 v54, v53
	v_add_f32_e32 v162, v52, v162
	v_add_f32_e32 v161, v52, v161
	v_mov_b32_e32 v164, v163
	v_add_f32_e32 v166, v52, v166
	v_add_f32_e32 v165, v52, v165
	;; [unrolled: 3-line block ×8, first 2 shown]
	v_add_f32_e32 v52, v160, v56
	v_sub_f32_e32 v56, v56, v160
	v_fmac_f32_e32 v54, 0x3f6eb680, v63
	v_fma_f32 v53, v63, s10, -v53
	v_fmac_f32_e32 v164, 0x3f3d2fb0, v63
	v_fma_f32 v163, v63, s8, -v163
	;; [unrolled: 2-line block ×8, first 2 shown]
	v_mul_f32_e32 v63, 0xbf2c7751, v56
	v_add_f32_e32 v54, v51, v54
	v_add_f32_e32 v53, v51, v53
	v_add_f32_e32 v164, v51, v164
	v_add_f32_e32 v163, v51, v163
	v_add_f32_e32 v168, v51, v168
	v_add_f32_e32 v167, v51, v167
	v_add_f32_e32 v172, v51, v172
	v_add_f32_e32 v171, v51, v171
	v_add_f32_e32 v176, v51, v176
	v_add_f32_e32 v175, v51, v175
	v_add_f32_e32 v180, v51, v180
	v_add_f32_e32 v179, v51, v179
	v_add_f32_e32 v184, v51, v184
	v_add_f32_e32 v183, v51, v183
	v_add_f32_e32 v187, v51, v187
	v_add_f32_e32 v47, v51, v47
	v_add_f32_e32 v51, v159, v55
	v_mov_b32_e32 v144, v63
	v_fmac_f32_e32 v144, 0x3f3d2fb0, v51
	v_sub_f32_e32 v55, v55, v159
	v_add_f32_e32 v54, v144, v54
	v_mul_f32_e32 v144, 0x3f3d2fb0, v52
	v_mov_b32_e32 v159, v144
	v_fma_f32 v63, v51, s8, -v63
	v_fmac_f32_e32 v144, 0xbf2c7751, v55
	v_add_f32_e32 v53, v63, v53
	v_add_f32_e32 v63, v144, v161
	v_mul_f32_e32 v144, 0xbf7ee86f, v56
	v_mov_b32_e32 v160, v144
	v_fma_f32 v144, v51, s2, -v144
	v_fmac_f32_e32 v159, 0x3f2c7751, v55
	v_fmac_f32_e32 v160, 0x3dbcf732, v51
	v_mul_f32_e32 v161, 0x3dbcf732, v52
	v_add_f32_e32 v144, v144, v163
	v_mul_f32_e32 v163, 0xbf4c4adb, v56
	v_add_f32_e32 v159, v159, v162
	v_add_f32_e32 v160, v160, v164
	v_mov_b32_e32 v162, v161
	v_fmac_f32_e32 v161, 0xbf7ee86f, v55
	v_mov_b32_e32 v164, v163
	v_fma_f32 v163, v51, s11, -v163
	v_fmac_f32_e32 v162, 0x3f7ee86f, v55
	v_add_f32_e32 v161, v161, v165
	v_fmac_f32_e32 v164, 0xbf1a4643, v51
	v_mul_f32_e32 v165, 0xbf1a4643, v52
	v_add_f32_e32 v163, v163, v167
	v_mul_f32_e32 v167, 0xbe3c28d5, v56
	v_add_f32_e32 v162, v162, v166
	v_add_f32_e32 v164, v164, v168
	v_mov_b32_e32 v166, v165
	v_fmac_f32_e32 v165, 0xbf4c4adb, v55
	v_mov_b32_e32 v168, v167
	v_fma_f32 v167, v51, s13, -v167
	v_fmac_f32_e32 v166, 0x3f4c4adb, v55
	v_add_f32_e32 v165, v165, v169
	;; [unrolled: 12-line block ×4, first 2 shown]
	v_fmac_f32_e32 v176, 0xbe8c1d8e, v51
	v_mul_f32_e32 v177, 0xbe8c1d8e, v52
	v_add_f32_e32 v175, v175, v179
	v_mul_f32_e32 v179, 0x3f65296c, v56
	v_add_f32_e32 v174, v174, v178
	v_add_f32_e32 v176, v176, v180
	v_mov_b32_e32 v178, v177
	v_fmac_f32_e32 v177, 0x3f763a35, v55
	v_mov_b32_e32 v180, v179
	v_fma_f32 v179, v51, s3, -v179
	v_mul_f32_e32 v56, 0x3eb8f4ab, v56
	v_fmac_f32_e32 v178, 0xbf763a35, v55
	v_add_f32_e32 v177, v177, v181
	v_fmac_f32_e32 v180, 0x3ee437d1, v51
	v_mul_f32_e32 v181, 0x3ee437d1, v52
	v_add_f32_e32 v179, v179, v183
	v_mov_b32_e32 v183, v56
	v_mul_f32_e32 v52, 0x3f6eb680, v52
	v_add_f32_e32 v178, v178, v182
	v_add_f32_e32 v180, v180, v184
	v_mov_b32_e32 v182, v181
	v_fmac_f32_e32 v183, 0x3f6eb680, v51
	v_mov_b32_e32 v184, v52
	v_fma_f32 v51, v51, s10, -v56
	v_sub_f32_e32 v56, v58, v158
	v_fmac_f32_e32 v182, 0xbf65296c, v55
	v_fmac_f32_e32 v181, 0x3f65296c, v55
	;; [unrolled: 1-line block ×3, first 2 shown]
	v_add_f32_e32 v47, v51, v47
	v_fmac_f32_e32 v52, 0x3eb8f4ab, v55
	v_add_f32_e32 v51, v157, v57
	v_sub_f32_e32 v55, v57, v157
	v_mul_f32_e32 v57, 0xbf65296c, v56
	v_add_f32_e32 v46, v52, v46
	v_add_f32_e32 v52, v158, v58
	v_mov_b32_e32 v58, v57
	v_fmac_f32_e32 v58, 0x3ee437d1, v51
	v_add_f32_e32 v54, v58, v54
	v_mul_f32_e32 v58, 0x3ee437d1, v52
	v_mov_b32_e32 v157, v58
	v_fma_f32 v57, v51, s3, -v57
	v_fmac_f32_e32 v58, 0xbf65296c, v55
	v_fmac_f32_e32 v157, 0x3f65296c, v55
	v_add_f32_e32 v53, v57, v53
	v_add_f32_e32 v57, v58, v63
	v_mul_f32_e32 v58, 0xbf4c4adb, v56
	v_mul_f32_e32 v158, 0xbf1a4643, v52
	v_add_f32_e32 v157, v157, v159
	v_mov_b32_e32 v63, v58
	v_mov_b32_e32 v159, v158
	v_fma_f32 v58, v51, s11, -v58
	v_fmac_f32_e32 v158, 0xbf4c4adb, v55
	v_fmac_f32_e32 v63, 0xbf1a4643, v51
	v_add_f32_e32 v58, v58, v144
	v_add_f32_e32 v144, v158, v161
	v_mul_f32_e32 v158, 0x3e3c28d5, v56
	v_add_f32_e32 v63, v63, v160
	v_mov_b32_e32 v160, v158
	v_fma_f32 v158, v51, s13, -v158
	v_fmac_f32_e32 v159, 0x3f4c4adb, v55
	v_fmac_f32_e32 v160, 0xbf7ba420, v51
	v_mul_f32_e32 v161, 0xbf7ba420, v52
	v_add_f32_e32 v158, v158, v163
	v_mul_f32_e32 v163, 0x3f763a35, v56
	v_add_f32_e32 v159, v159, v162
	v_add_f32_e32 v160, v160, v164
	v_mov_b32_e32 v162, v161
	v_fmac_f32_e32 v161, 0x3e3c28d5, v55
	v_mov_b32_e32 v164, v163
	v_fma_f32 v163, v51, s9, -v163
	v_fmac_f32_e32 v162, 0xbe3c28d5, v55
	v_add_f32_e32 v161, v161, v165
	v_fmac_f32_e32 v164, 0xbe8c1d8e, v51
	v_mul_f32_e32 v165, 0xbe8c1d8e, v52
	v_add_f32_e32 v163, v163, v167
	v_mul_f32_e32 v167, 0x3f2c7751, v56
	v_add_f32_e32 v162, v162, v166
	v_add_f32_e32 v164, v164, v168
	v_mov_b32_e32 v166, v165
	v_fmac_f32_e32 v165, 0x3f763a35, v55
	v_mov_b32_e32 v168, v167
	v_fma_f32 v167, v51, s8, -v167
	v_fmac_f32_e32 v166, 0xbf763a35, v55
	v_add_f32_e32 v165, v165, v169
	;; [unrolled: 12-line block ×3, first 2 shown]
	v_fmac_f32_e32 v172, 0x3f6eb680, v51
	v_mul_f32_e32 v173, 0x3f6eb680, v52
	v_add_f32_e32 v171, v171, v175
	v_mul_f32_e32 v175, 0xbf7ee86f, v56
	v_add_f32_e32 v170, v170, v174
	v_add_f32_e32 v172, v172, v176
	v_mov_b32_e32 v174, v173
	v_fmac_f32_e32 v173, 0xbeb8f4ab, v55
	v_mov_b32_e32 v176, v175
	v_fma_f32 v175, v51, s2, -v175
	v_mul_f32_e32 v56, 0xbf06c442, v56
	v_fmac_f32_e32 v174, 0x3eb8f4ab, v55
	v_add_f32_e32 v173, v173, v177
	v_fmac_f32_e32 v176, 0x3dbcf732, v51
	v_mul_f32_e32 v177, 0x3dbcf732, v52
	v_add_f32_e32 v175, v175, v179
	v_mov_b32_e32 v179, v56
	v_mul_f32_e32 v52, 0xbf59a7d5, v52
	v_add_f32_e32 v174, v174, v178
	v_add_f32_e32 v176, v176, v180
	v_mov_b32_e32 v178, v177
	v_fmac_f32_e32 v179, 0xbf59a7d5, v51
	v_mov_b32_e32 v180, v52
	v_fma_f32 v51, v51, s12, -v56
	v_sub_f32_e32 v56, v60, v140
	v_fmac_f32_e32 v178, 0x3f7ee86f, v55
	v_fmac_f32_e32 v177, 0xbf7ee86f, v55
	v_fmac_f32_e32 v180, 0x3f06c442, v55
	v_add_f32_e32 v47, v51, v47
	v_fmac_f32_e32 v52, 0xbf06c442, v55
	v_add_f32_e32 v51, v139, v59
	v_sub_f32_e32 v55, v59, v139
	v_mul_f32_e32 v59, 0xbf7ee86f, v56
	v_add_f32_e32 v46, v52, v46
	v_add_f32_e32 v52, v140, v60
	v_mov_b32_e32 v60, v59
	v_fmac_f32_e32 v60, 0x3dbcf732, v51
	v_add_f32_e32 v54, v60, v54
	v_mul_f32_e32 v60, 0x3dbcf732, v52
	v_fma_f32 v59, v51, s2, -v59
	v_mov_b32_e32 v139, v60
	v_add_f32_e32 v53, v59, v53
	v_fmac_f32_e32 v60, 0xbf7ee86f, v55
	v_mul_f32_e32 v59, 0xbe3c28d5, v56
	v_add_f32_e32 v57, v60, v57
	v_mov_b32_e32 v60, v59
	v_fmac_f32_e32 v60, 0xbf7ba420, v51
	v_add_f32_e32 v60, v60, v63
	v_mul_f32_e32 v63, 0xbf7ba420, v52
	v_mov_b32_e32 v140, v63
	v_fma_f32 v59, v51, s13, -v59
	v_fmac_f32_e32 v63, 0xbe3c28d5, v55
	v_add_f32_e32 v58, v59, v58
	v_add_f32_e32 v59, v63, v144
	v_mul_f32_e32 v63, 0x3f763a35, v56
	v_fmac_f32_e32 v139, 0x3f7ee86f, v55
	v_mov_b32_e32 v144, v63
	v_fma_f32 v63, v51, s9, -v63
	v_add_f32_e32 v139, v139, v157
	v_fmac_f32_e32 v140, 0x3e3c28d5, v55
	v_fmac_f32_e32 v144, 0xbe8c1d8e, v51
	v_mul_f32_e32 v157, 0xbe8c1d8e, v52
	v_add_f32_e32 v63, v63, v158
	v_mul_f32_e32 v158, 0x3eb8f4ab, v56
	v_add_f32_e32 v140, v140, v159
	v_add_f32_e32 v144, v144, v160
	v_mov_b32_e32 v159, v157
	v_fmac_f32_e32 v157, 0x3f763a35, v55
	v_mov_b32_e32 v160, v158
	v_fma_f32 v158, v51, s10, -v158
	v_fmac_f32_e32 v159, 0xbf763a35, v55
	v_add_f32_e32 v157, v157, v161
	v_fmac_f32_e32 v160, 0x3f6eb680, v51
	v_mul_f32_e32 v161, 0x3f6eb680, v52
	v_add_f32_e32 v158, v158, v163
	v_mul_f32_e32 v163, 0xbf65296c, v56
	v_add_f32_e32 v159, v159, v162
	v_add_f32_e32 v160, v160, v164
	v_mov_b32_e32 v162, v161
	v_fmac_f32_e32 v161, 0x3eb8f4ab, v55
	v_mov_b32_e32 v164, v163
	v_fma_f32 v163, v51, s3, -v163
	v_fmac_f32_e32 v162, 0xbeb8f4ab, v55
	v_add_f32_e32 v161, v161, v165
	;; [unrolled: 12-line block ×3, first 2 shown]
	v_fmac_f32_e32 v168, 0xbf59a7d5, v51
	v_mul_f32_e32 v169, 0xbf59a7d5, v52
	v_add_f32_e32 v167, v167, v171
	v_mul_f32_e32 v171, 0x3f4c4adb, v56
	v_add_f32_e32 v166, v166, v170
	v_add_f32_e32 v168, v168, v172
	v_mov_b32_e32 v170, v169
	v_fmac_f32_e32 v169, 0xbf06c442, v55
	v_mov_b32_e32 v172, v171
	v_fma_f32 v171, v51, s11, -v171
	v_mul_f32_e32 v56, 0x3f2c7751, v56
	v_fmac_f32_e32 v170, 0x3f06c442, v55
	v_add_f32_e32 v169, v169, v173
	v_fmac_f32_e32 v172, 0xbf1a4643, v51
	v_mul_f32_e32 v173, 0xbf1a4643, v52
	v_add_f32_e32 v171, v171, v175
	v_mov_b32_e32 v175, v56
	v_mul_f32_e32 v52, 0x3f3d2fb0, v52
	v_add_f32_e32 v170, v170, v174
	v_add_f32_e32 v172, v172, v176
	v_mov_b32_e32 v174, v173
	v_fmac_f32_e32 v175, 0x3f3d2fb0, v51
	v_mov_b32_e32 v176, v52
	v_fma_f32 v51, v51, s8, -v56
	v_sub_f32_e32 v56, v62, v138
	v_fmac_f32_e32 v174, 0xbf4c4adb, v55
	v_fmac_f32_e32 v173, 0x3f4c4adb, v55
	;; [unrolled: 1-line block ×3, first 2 shown]
	v_add_f32_e32 v47, v51, v47
	v_fmac_f32_e32 v52, 0x3f2c7751, v55
	v_add_f32_e32 v51, v137, v61
	v_sub_f32_e32 v55, v61, v137
	v_mul_f32_e32 v61, 0xbf763a35, v56
	v_add_f32_e32 v46, v52, v46
	v_add_f32_e32 v52, v138, v62
	v_mov_b32_e32 v62, v61
	v_fmac_f32_e32 v62, 0xbe8c1d8e, v51
	v_add_f32_e32 v54, v62, v54
	v_mul_f32_e32 v62, 0xbe8c1d8e, v52
	v_fma_f32 v61, v51, s9, -v61
	v_mov_b32_e32 v137, v62
	v_add_f32_e32 v53, v61, v53
	v_fmac_f32_e32 v62, 0xbf763a35, v55
	v_mul_f32_e32 v61, 0x3f06c442, v56
	v_add_f32_e32 v57, v62, v57
	v_mov_b32_e32 v62, v61
	v_fmac_f32_e32 v62, 0xbf59a7d5, v51
	v_add_f32_e32 v60, v62, v60
	v_mul_f32_e32 v62, 0xbf59a7d5, v52
	v_fmac_f32_e32 v137, 0x3f763a35, v55
	v_mov_b32_e32 v138, v62
	v_fma_f32 v61, v51, s12, -v61
	v_add_f32_e32 v137, v137, v139
	v_fmac_f32_e32 v138, 0xbf06c442, v55
	v_add_f32_e32 v58, v61, v58
	v_fmac_f32_e32 v62, 0x3f06c442, v55
	v_mul_f32_e32 v61, 0x3f2c7751, v56
	v_mul_f32_e32 v139, 0x3f3d2fb0, v52
	v_add_f32_e32 v138, v138, v140
	v_add_f32_e32 v59, v62, v59
	v_mov_b32_e32 v62, v61
	v_mov_b32_e32 v140, v139
	v_fma_f32 v61, v51, s8, -v61
	v_fmac_f32_e32 v139, 0x3f2c7751, v55
	v_fmac_f32_e32 v62, 0x3f3d2fb0, v51
	v_add_f32_e32 v61, v61, v63
	v_add_f32_e32 v63, v139, v157
	v_mul_f32_e32 v139, 0xbf65296c, v56
	v_add_f32_e32 v62, v62, v144
	v_mov_b32_e32 v144, v139
	v_fma_f32 v139, v51, s3, -v139
	v_fmac_f32_e32 v140, 0xbf2c7751, v55
	v_fmac_f32_e32 v144, 0x3ee437d1, v51
	v_mul_f32_e32 v157, 0x3ee437d1, v52
	v_add_f32_e32 v139, v139, v158
	v_mul_f32_e32 v158, 0xbe3c28d5, v56
	v_add_f32_e32 v140, v140, v159
	v_add_f32_e32 v144, v144, v160
	v_mov_b32_e32 v159, v157
	v_fmac_f32_e32 v157, 0xbf65296c, v55
	v_mov_b32_e32 v160, v158
	v_fma_f32 v158, v51, s13, -v158
	v_fmac_f32_e32 v159, 0x3f65296c, v55
	v_add_f32_e32 v157, v157, v161
	v_fmac_f32_e32 v160, 0xbf7ba420, v51
	v_mul_f32_e32 v161, 0xbf7ba420, v52
	v_add_f32_e32 v158, v158, v163
	v_mul_f32_e32 v163, 0x3f7ee86f, v56
	v_add_f32_e32 v159, v159, v162
	v_add_f32_e32 v160, v160, v164
	v_mov_b32_e32 v162, v161
	v_fmac_f32_e32 v161, 0xbe3c28d5, v55
	v_mov_b32_e32 v164, v163
	v_fma_f32 v163, v51, s2, -v163
	v_fmac_f32_e32 v162, 0x3e3c28d5, v55
	v_add_f32_e32 v161, v161, v165
	v_fmac_f32_e32 v164, 0x3dbcf732, v51
	v_mul_f32_e32 v165, 0x3dbcf732, v52
	v_add_f32_e32 v163, v163, v167
	v_mul_f32_e32 v167, 0xbeb8f4ab, v56
	v_add_f32_e32 v162, v162, v166
	v_add_f32_e32 v164, v164, v168
	v_mov_b32_e32 v166, v165
	v_fmac_f32_e32 v165, 0x3f7ee86f, v55
	v_mov_b32_e32 v168, v167
	v_add_f32_e32 v165, v165, v169
	v_fmac_f32_e32 v168, 0x3f6eb680, v51
	v_mul_f32_e32 v169, 0x3f6eb680, v52
	v_fma_f32 v167, v51, s10, -v167
	v_mul_f32_e32 v56, 0xbf4c4adb, v56
	v_mul_f32_e32 v52, 0xbf1a4643, v52
	v_add_f32_e32 v168, v168, v172
	v_add_f32_e32 v167, v167, v171
	v_mov_b32_e32 v171, v56
	v_mov_b32_e32 v172, v52
	v_fmac_f32_e32 v52, 0xbf4c4adb, v55
	v_fmac_f32_e32 v171, 0xbf1a4643, v51
	v_fma_f32 v51, v51, s11, -v56
	v_add_f32_e32 v46, v52, v46
	v_add_f32_e32 v52, v43, v37
	v_sub_f32_e32 v37, v37, v43
	v_add_f32_e32 v47, v51, v47
	v_add_f32_e32 v51, v42, v36
	v_sub_f32_e32 v36, v36, v42
	v_mul_f32_e32 v42, 0xbf4c4adb, v37
	v_mov_b32_e32 v43, v42
	v_fmac_f32_e32 v166, 0xbf7ee86f, v55
	v_fmac_f32_e32 v43, 0xbf1a4643, v51
	v_add_f32_e32 v166, v166, v170
	v_mov_b32_e32 v170, v169
	v_add_f32_e32 v43, v43, v54
	v_mul_f32_e32 v54, 0xbf1a4643, v52
	v_fmac_f32_e32 v170, 0x3eb8f4ab, v55
	v_fmac_f32_e32 v169, 0xbeb8f4ab, v55
	;; [unrolled: 1-line block ×3, first 2 shown]
	v_mov_b32_e32 v55, v54
	v_fma_f32 v42, v51, s11, -v42
	v_fmac_f32_e32 v54, 0xbf4c4adb, v36
	v_add_f32_e32 v42, v42, v53
	v_add_f32_e32 v53, v54, v57
	v_mul_f32_e32 v54, 0x3f763a35, v37
	v_mov_b32_e32 v56, v54
	v_fmac_f32_e32 v56, 0xbe8c1d8e, v51
	v_mul_f32_e32 v57, 0xbe8c1d8e, v52
	v_fma_f32 v54, v51, s9, -v54
	v_add_f32_e32 v56, v56, v60
	v_mov_b32_e32 v60, v57
	v_add_f32_e32 v54, v54, v58
	v_fmac_f32_e32 v57, 0x3f763a35, v36
	v_mul_f32_e32 v58, 0xbeb8f4ab, v37
	v_add_f32_e32 v57, v57, v59
	v_mov_b32_e32 v59, v58
	v_fmac_f32_e32 v59, 0x3f6eb680, v51
	v_fmac_f32_e32 v55, 0x3f4c4adb, v36
	v_add_f32_e32 v59, v59, v62
	v_mul_f32_e32 v62, 0x3f6eb680, v52
	v_add_f32_e32 v55, v55, v137
	v_mov_b32_e32 v137, v62
	v_fma_f32 v58, v51, s10, -v58
	v_fmac_f32_e32 v62, 0xbeb8f4ab, v36
	v_add_f32_e32 v58, v58, v61
	v_add_f32_e32 v61, v62, v63
	v_mul_f32_e32 v62, 0xbf06c442, v37
	v_fmac_f32_e32 v60, 0xbf763a35, v36
	v_mov_b32_e32 v63, v62
	v_fma_f32 v62, v51, s12, -v62
	v_add_f32_e32 v60, v60, v138
	v_fmac_f32_e32 v137, 0x3eb8f4ab, v36
	v_fmac_f32_e32 v63, 0xbf59a7d5, v51
	v_mul_f32_e32 v138, 0xbf59a7d5, v52
	v_add_f32_e32 v62, v62, v139
	v_mul_f32_e32 v139, 0x3f7ee86f, v37
	v_add_f32_e32 v137, v137, v140
	v_add_f32_e32 v63, v63, v144
	v_mov_b32_e32 v140, v138
	v_fmac_f32_e32 v138, 0xbf06c442, v36
	v_mov_b32_e32 v144, v139
	v_fma_f32 v139, v51, s2, -v139
	v_fmac_f32_e32 v140, 0x3f06c442, v36
	v_add_f32_e32 v138, v138, v157
	v_fmac_f32_e32 v144, 0x3dbcf732, v51
	v_mul_f32_e32 v157, 0x3dbcf732, v52
	v_add_f32_e32 v139, v139, v158
	v_mul_f32_e32 v158, 0xbf2c7751, v37
	v_add_f32_e32 v140, v140, v159
	v_add_f32_e32 v144, v144, v160
	v_mov_b32_e32 v159, v157
	v_fmac_f32_e32 v157, 0x3f7ee86f, v36
	v_mov_b32_e32 v160, v158
	v_fma_f32 v158, v51, s8, -v158
	v_fmac_f32_e32 v159, 0xbf7ee86f, v36
	v_add_f32_e32 v157, v157, v161
	v_fmac_f32_e32 v160, 0x3f3d2fb0, v51
	v_mul_f32_e32 v161, 0x3f3d2fb0, v52
	v_add_f32_e32 v158, v158, v163
	v_mul_f32_e32 v163, 0xbe3c28d5, v37
	v_add_f32_e32 v159, v159, v162
	v_add_f32_e32 v160, v160, v164
	v_mov_b32_e32 v162, v161
	v_fmac_f32_e32 v161, 0xbf2c7751, v36
	v_mov_b32_e32 v164, v163
	v_fma_f32 v163, v51, s13, -v163
	v_mul_f32_e32 v37, 0x3f65296c, v37
	v_fmac_f32_e32 v162, 0x3f2c7751, v36
	v_add_f32_e32 v161, v161, v165
	v_fmac_f32_e32 v164, 0xbf7ba420, v51
	v_mul_f32_e32 v165, 0xbf7ba420, v52
	v_add_f32_e32 v163, v163, v167
	v_mov_b32_e32 v167, v37
	v_mul_f32_e32 v52, 0x3ee437d1, v52
	v_fma_f32 v37, v51, s3, -v37
	v_add_f32_e32 v162, v162, v166
	v_add_f32_e32 v164, v164, v168
	v_mov_b32_e32 v166, v165
	v_mov_b32_e32 v168, v52
	v_add_f32_e32 v37, v37, v47
	v_fmac_f32_e32 v52, 0x3f65296c, v36
	v_add_f32_e32 v47, v41, v39
	v_sub_f32_e32 v39, v39, v41
	v_fmac_f32_e32 v166, 0x3e3c28d5, v36
	v_fmac_f32_e32 v165, 0xbe3c28d5, v36
	v_fmac_f32_e32 v168, 0xbf65296c, v36
	v_add_f32_e32 v36, v52, v46
	v_add_f32_e32 v46, v40, v38
	v_sub_f32_e32 v38, v38, v40
	v_mul_f32_e32 v40, 0xbf06c442, v39
	v_mov_b32_e32 v41, v40
	v_fmac_f32_e32 v41, 0xbf59a7d5, v46
	v_add_f32_e32 v41, v41, v43
	v_mul_f32_e32 v43, 0xbf59a7d5, v47
	v_fmac_f32_e32 v167, 0x3ee437d1, v51
	v_mov_b32_e32 v51, v43
	v_fma_f32 v40, v46, s12, -v40
	v_fmac_f32_e32 v43, 0xbf06c442, v38
	v_add_f32_e32 v40, v40, v42
	v_add_f32_e32 v42, v43, v53
	v_mul_f32_e32 v43, 0x3f65296c, v39
	v_mov_b32_e32 v52, v43
	v_fma_f32 v43, v46, s3, -v43
	v_fmac_f32_e32 v51, 0x3f06c442, v38
	v_fmac_f32_e32 v52, 0x3ee437d1, v46
	v_mul_f32_e32 v53, 0x3ee437d1, v47
	v_add_f32_e32 v43, v43, v54
	v_mul_f32_e32 v54, 0xbf7ee86f, v39
	v_add_f32_e32 v51, v51, v55
	v_add_f32_e32 v52, v52, v56
	v_mov_b32_e32 v55, v53
	v_fmac_f32_e32 v53, 0x3f65296c, v38
	v_mov_b32_e32 v56, v54
	v_fma_f32 v54, v46, s2, -v54
	v_fmac_f32_e32 v55, 0xbf65296c, v38
	v_add_f32_e32 v53, v53, v57
	v_fmac_f32_e32 v56, 0x3dbcf732, v46
	v_mul_f32_e32 v57, 0x3dbcf732, v47
	v_add_f32_e32 v54, v54, v58
	v_mul_f32_e32 v58, 0x3f4c4adb, v39
	v_add_f32_e32 v55, v55, v60
	v_add_f32_e32 v56, v56, v59
	v_mov_b32_e32 v59, v57
	v_fmac_f32_e32 v57, 0xbf7ee86f, v38
	v_mov_b32_e32 v60, v58
	v_fma_f32 v58, v46, s11, -v58
	v_fmac_f32_e32 v59, 0x3f7ee86f, v38
	v_add_f32_e32 v57, v57, v61
	v_fmac_f32_e32 v60, 0xbf1a4643, v46
	v_mul_f32_e32 v61, 0xbf1a4643, v47
	v_add_f32_e32 v58, v58, v62
	v_mul_f32_e32 v62, 0xbeb8f4ab, v39
	v_add_f32_e32 v59, v59, v137
	v_add_f32_e32 v60, v60, v63
	v_mov_b32_e32 v63, v61
	v_mov_b32_e32 v137, v62
	v_fmac_f32_e32 v63, 0xbf4c4adb, v38
	v_fmac_f32_e32 v137, 0x3f6eb680, v46
	v_add_f32_e32 v63, v63, v140
	v_fmac_f32_e32 v61, 0x3f4c4adb, v38
	v_add_f32_e32 v140, v137, v144
	v_mul_f32_e32 v137, 0x3f6eb680, v47
	v_add_f32_e32 v61, v61, v138
	v_mov_b32_e32 v138, v137
	v_fma_f32 v62, v46, s10, -v62
	v_fmac_f32_e32 v137, 0xbeb8f4ab, v38
	v_fmac_f32_e32 v138, 0x3eb8f4ab, v38
	v_add_f32_e32 v62, v62, v139
	v_add_f32_e32 v139, v137, v157
	v_mul_f32_e32 v137, 0xbe3c28d5, v39
	v_add_f32_e32 v144, v138, v159
	v_mov_b32_e32 v138, v137
	v_fmac_f32_e32 v138, 0xbf7ba420, v46
	v_add_f32_e32 v157, v138, v160
	v_mul_f32_e32 v138, 0xbf7ba420, v47
	v_fma_f32 v137, v46, s13, -v137
	v_add_f32_e32 v181, v181, v185
	v_add_f32_e32 v183, v183, v187
	;; [unrolled: 1-line block ×3, first 2 shown]
	v_mov_b32_e32 v159, v138
	v_add_f32_e32 v158, v137, v158
	v_fmac_f32_e32 v138, 0xbe3c28d5, v38
	v_mul_f32_e32 v137, 0x3f2c7751, v39
	v_add_f32_e32 v177, v177, v181
	v_add_f32_e32 v179, v179, v183
	;; [unrolled: 1-line block ×4, first 2 shown]
	v_mov_b32_e32 v138, v137
	v_add_f32_e32 v182, v182, v186
	v_add_f32_e32 v173, v173, v177
	;; [unrolled: 1-line block ×4, first 2 shown]
	v_fmac_f32_e32 v138, 0x3f3d2fb0, v46
	v_fma_f32 v137, v46, s8, -v137
	v_mul_f32_e32 v39, 0xbf763a35, v39
	v_add_f32_e32 v178, v178, v182
	v_add_f32_e32 v169, v169, v173
	;; [unrolled: 1-line block ×4, first 2 shown]
	v_fmac_f32_e32 v159, 0x3e3c28d5, v38
	v_add_f32_e32 v161, v138, v164
	v_mul_f32_e32 v138, 0x3f3d2fb0, v47
	v_add_f32_e32 v163, v137, v163
	v_mov_b32_e32 v137, v39
	v_add_f32_e32 v174, v174, v178
	v_add_f32_e32 v165, v165, v169
	;; [unrolled: 1-line block ×5, first 2 shown]
	v_mov_b32_e32 v162, v138
	v_fmac_f32_e32 v138, 0x3f2c7751, v38
	v_fmac_f32_e32 v137, 0xbe8c1d8e, v46
	v_mul_f32_e32 v47, 0xbe8c1d8e, v47
	v_sub_f32_e32 v172, v33, v35
	v_add_f32_e32 v170, v170, v174
	v_add_f32_e32 v164, v138, v165
	;; [unrolled: 1-line block ×3, first 2 shown]
	v_mov_b32_e32 v137, v47
	v_add_f32_e32 v169, v34, v32
	v_sub_f32_e32 v171, v32, v34
	v_mul_f32_e32 v34, 0xbe3c28d5, v172
	v_add_f32_e32 v166, v166, v170
	v_fmac_f32_e32 v162, 0xbf2c7751, v38
	v_fmac_f32_e32 v137, 0x3f763a35, v38
	;; [unrolled: 1-line block ×3, first 2 shown]
	v_add_f32_e32 v170, v35, v33
	v_mov_b32_e32 v32, v34
	v_fma_f32 v34, v169, s13, -v34
	v_add_f32_e32 v162, v162, v166
	v_add_f32_e32 v166, v137, v168
	v_fma_f32 v39, v46, s9, -v39
	v_add_f32_e32 v168, v47, v36
	v_mul_f32_e32 v35, 0xbf7ba420, v170
	v_add_f32_e32 v137, v34, v40
	v_mul_f32_e32 v36, 0x3eb8f4ab, v172
	v_mul_f32_e32 v40, 0xbf06c442, v172
	v_add_f32_e32 v167, v39, v37
	v_mov_b32_e32 v33, v35
	v_fmac_f32_e32 v35, 0xbe3c28d5, v171
	v_mov_b32_e32 v34, v36
	v_mul_f32_e32 v37, 0x3f6eb680, v170
	v_mov_b32_e32 v38, v40
	v_fma_f32 v40, v169, s12, -v40
	v_fmac_f32_e32 v32, 0xbf7ba420, v169
	v_add_f32_e32 v138, v35, v42
	v_fmac_f32_e32 v34, 0x3f6eb680, v169
	v_mov_b32_e32 v35, v37
	v_fma_f32 v36, v169, s10, -v36
	v_fmac_f32_e32 v37, 0x3eb8f4ab, v171
	v_add_f32_e32 v40, v40, v54
	v_mul_f32_e32 v47, 0x3f3d2fb0, v170
	v_mul_f32_e32 v54, 0xbf1a4643, v170
	v_add_f32_e32 v32, v32, v41
	v_fmac_f32_e32 v33, 0x3e3c28d5, v171
	v_add_f32_e32 v34, v34, v52
	v_add_f32_e32 v36, v36, v43
	;; [unrolled: 1-line block ×3, first 2 shown]
	v_mul_f32_e32 v41, 0xbf59a7d5, v170
	v_mul_f32_e32 v46, 0x3f2c7751, v172
	v_mov_b32_e32 v43, v47
	v_mul_f32_e32 v53, 0xbf4c4adb, v172
	v_mov_b32_e32 v52, v54
	v_add_f32_e32 v33, v33, v51
	v_mov_b32_e32 v39, v41
	v_fmac_f32_e32 v41, 0xbf06c442, v171
	v_mov_b32_e32 v42, v46
	v_fmac_f32_e32 v43, 0xbf2c7751, v171
	v_fma_f32 v46, v169, s8, -v46
	v_fmac_f32_e32 v47, 0x3f2c7751, v171
	v_mov_b32_e32 v51, v53
	v_fmac_f32_e32 v52, 0x3f4c4adb, v171
	v_fma_f32 v53, v169, s11, -v53
	v_fmac_f32_e32 v35, 0xbeb8f4ab, v171
	v_fmac_f32_e32 v38, 0xbf59a7d5, v169
	;; [unrolled: 1-line block ×3, first 2 shown]
	v_add_f32_e32 v41, v41, v57
	v_fmac_f32_e32 v42, 0x3f3d2fb0, v169
	v_add_f32_e32 v43, v43, v63
	v_add_f32_e32 v46, v46, v58
	v_add_f32_e32 v47, v47, v61
	v_fmac_f32_e32 v51, 0xbf1a4643, v169
	v_add_f32_e32 v52, v52, v144
	v_add_f32_e32 v53, v53, v62
	v_fmac_f32_e32 v54, 0xbf4c4adb, v171
	v_mul_f32_e32 v57, 0x3f65296c, v172
	v_mul_f32_e32 v58, 0x3ee437d1, v170
	;; [unrolled: 1-line block ×6, first 2 shown]
	v_add_f32_e32 v35, v35, v55
	v_add_f32_e32 v38, v38, v56
	;; [unrolled: 1-line block ×6, first 2 shown]
	v_mov_b32_e32 v55, v57
	v_mov_b32_e32 v56, v58
	;; [unrolled: 1-line block ×6, first 2 shown]
	v_fmac_f32_e32 v55, 0x3ee437d1, v169
	v_fmac_f32_e32 v56, 0xbf65296c, v171
	v_fma_f32 v57, v169, s3, -v57
	v_fmac_f32_e32 v58, 0x3f65296c, v171
	v_fmac_f32_e32 v59, 0xbe8c1d8e, v169
	v_fmac_f32_e32 v60, 0x3f763a35, v171
	v_fma_f32 v61, v169, s9, -v61
	v_fmac_f32_e32 v62, 0xbf763a35, v171
	;; [unrolled: 4-line block ×3, first 2 shown]
	v_add_f32_e32 v55, v55, v157
	v_add_f32_e32 v56, v56, v159
	;; [unrolled: 1-line block ×12, first 2 shown]
	s_barrier
	ds_write2_b64 v145, v[44:45], v[32:33] offset1:1
	ds_write2_b64 v145, v[34:35], v[38:39] offset0:2 offset1:3
	ds_write2_b64 v145, v[42:43], v[51:52] offset0:4 offset1:5
	;; [unrolled: 1-line block ×7, first 2 shown]
	ds_write_b64 v145, v[137:138] offset:128
	v_add_u32_e32 v32, 0x1400, v141
	s_waitcnt lgkmcnt(0)
	s_barrier
	ds_read2_b64 v[44:47], v141 offset1:68
	ds_read2_b64 v[60:63], v49 offset0:66 offset1:134
	ds_read2_b64 v[40:43], v141 offset0:136 offset1:204
	;; [unrolled: 1-line block ×6, first 2 shown]
	v_add_u32_e32 v48, 0x1c00, v141
	ds_read2_b64 v[48:51], v48 offset0:90 offset1:158
	s_and_saveexec_b64 s[2:3], s[0:1]
	s_cbranch_execz .LBB0_11
; %bb.10:
	ds_read_b64 v[137:138], v141 offset:4352
	ds_read_b64 v[135:136], v141 offset:8976
.LBB0_11:
	s_or_b64 exec, exec, s[2:3]
	s_waitcnt lgkmcnt(6)
	v_mul_f32_e32 v139, v106, v61
	v_fmac_f32_e32 v139, v105, v60
	v_mul_f32_e32 v60, v106, v60
	v_fma_f32 v60, v105, v61, -v60
	v_mul_f32_e32 v61, v104, v63
	v_fmac_f32_e32 v61, v103, v62
	v_mul_f32_e32 v62, v104, v62
	v_fma_f32 v62, v103, v63, -v62
	s_waitcnt lgkmcnt(4)
	v_mul_f32_e32 v63, v102, v57
	v_fmac_f32_e32 v63, v101, v56
	v_mul_f32_e32 v56, v102, v56
	v_fma_f32 v56, v101, v57, -v56
	v_mul_f32_e32 v57, v100, v59
	v_fmac_f32_e32 v57, v99, v58
	v_mul_f32_e32 v58, v100, v58
	s_waitcnt lgkmcnt(0)
	v_mul_f32_e32 v102, v112, v49
	v_fma_f32 v58, v99, v59, -v58
	v_mul_f32_e32 v59, v108, v53
	v_fmac_f32_e32 v102, v111, v48
	v_mul_f32_e32 v48, v112, v48
	v_fmac_f32_e32 v59, v107, v52
	v_mul_f32_e32 v52, v108, v52
	v_fma_f32 v103, v111, v49, -v48
	v_mul_f32_e32 v48, v110, v50
	v_fma_f32 v99, v107, v53, -v52
	v_mul_f32_e32 v100, v114, v55
	v_mul_f32_e32 v52, v114, v54
	;; [unrolled: 1-line block ×3, first 2 shown]
	v_fma_f32 v105, v109, v51, -v48
	v_mul_f32_e32 v106, v116, v136
	v_mul_f32_e32 v48, v116, v135
	v_fmac_f32_e32 v100, v113, v54
	v_fma_f32 v101, v113, v55, -v52
	v_fmac_f32_e32 v104, v109, v50
	v_fmac_f32_e32 v106, v115, v135
	v_fma_f32 v107, v115, v136, -v48
	v_sub_f32_e32 v48, v44, v139
	v_sub_f32_e32 v49, v45, v60
	;; [unrolled: 1-line block ×5, first 2 shown]
	v_fma_f32 v44, v44, 2.0, -v48
	v_fma_f32 v45, v45, 2.0, -v49
	v_sub_f32_e32 v51, v47, v62
	v_sub_f32_e32 v52, v40, v63
	;; [unrolled: 1-line block ×9, first 2 shown]
	v_fma_f32 v62, v32, 2.0, -v60
	v_fma_f32 v63, v33, 2.0, -v61
	v_sub_f32_e32 v99, v34, v104
	v_sub_f32_e32 v100, v35, v105
	v_sub_f32_e32 v32, v137, v106
	v_sub_f32_e32 v33, v138, v107
	v_fma_f32 v46, v46, 2.0, -v50
	v_fma_f32 v47, v47, 2.0, -v51
	v_fma_f32 v40, v40, 2.0, -v52
	v_fma_f32 v41, v41, 2.0, -v53
	v_fma_f32 v42, v42, 2.0, -v54
	v_fma_f32 v43, v43, 2.0, -v55
	v_fma_f32 v36, v36, 2.0, -v56
	v_fma_f32 v37, v37, 2.0, -v57
	v_fma_f32 v38, v38, 2.0, -v58
	v_fma_f32 v39, v39, 2.0, -v59
	v_fma_f32 v34, v34, 2.0, -v99
	v_fma_f32 v35, v35, 2.0, -v100
	s_barrier
	ds_write2_b64 v146, v[44:45], v[48:49] offset1:17
	ds_write2_b64 v147, v[46:47], v[50:51] offset1:17
	;; [unrolled: 1-line block ×8, first 2 shown]
	s_and_saveexec_b64 s[2:3], s[0:1]
	s_cbranch_execz .LBB0_13
; %bb.12:
	v_fma_f32 v35, v138, 2.0, -v33
	v_fma_f32 v34, v137, 2.0, -v32
	v_lshl_add_u32 v36, v153, 3, v143
	ds_write2_b64 v36, v[34:35], v[32:33] offset1:17
.LBB0_13:
	s_or_b64 exec, exec, s[2:3]
	s_waitcnt lgkmcnt(0)
	s_barrier
	ds_read2_b64 v[39:42], v141 offset1:68
	ds_read2_b64 v[43:46], v141 offset0:136 offset1:204
	v_add_u32_e32 v36, 0x800, v141
	ds_read2_b64 v[47:50], v36 offset0:16 offset1:84
	ds_read2_b64 v[51:54], v36 offset0:152 offset1:220
	v_add_u32_e32 v38, 0x1000, v141
	s_waitcnt lgkmcnt(3)
	v_mul_f32_e32 v63, v25, v42
	v_mul_f32_e32 v25, v25, v41
	v_fmac_f32_e32 v63, v24, v41
	v_fma_f32 v41, v24, v42, -v25
	s_waitcnt lgkmcnt(2)
	v_mul_f32_e32 v42, v27, v44
	ds_read2_b64 v[55:58], v38 offset0:32 offset1:100
	ds_read2_b64 v[59:62], v38 offset0:168 offset1:236
	v_fmac_f32_e32 v42, v26, v43
	v_mul_f32_e32 v24, v27, v43
	v_mul_f32_e32 v43, v17, v46
	v_mul_f32_e32 v17, v17, v45
	v_fma_f32 v27, v26, v44, -v24
	v_fmac_f32_e32 v43, v16, v45
	v_fma_f32 v44, v16, v46, -v17
	s_waitcnt lgkmcnt(3)
	v_mul_f32_e32 v45, v19, v48
	v_mul_f32_e32 v16, v19, v47
	;; [unrolled: 1-line block ×4, first 2 shown]
	v_fmac_f32_e32 v45, v18, v47
	v_fma_f32 v46, v18, v48, -v16
	v_fmac_f32_e32 v25, v8, v49
	v_fma_f32 v26, v8, v50, -v9
	s_waitcnt lgkmcnt(2)
	v_mul_f32_e32 v18, v11, v52
	v_mul_f32_e32 v8, v11, v51
	v_fmac_f32_e32 v18, v10, v51
	v_fma_f32 v19, v10, v52, -v8
	v_mul_f32_e32 v10, v1, v54
	v_mul_f32_e32 v1, v1, v53
	v_add_u32_e32 v37, 0x1800, v141
	v_fmac_f32_e32 v10, v0, v53
	v_fma_f32 v11, v0, v54, -v1
	s_waitcnt lgkmcnt(1)
	v_mul_f32_e32 v8, v3, v56
	v_mul_f32_e32 v0, v3, v55
	ds_read2_b64 v[99:102], v37 offset0:48 offset1:116
	ds_read2_b64 v[103:106], v37 offset0:184 offset1:252
	ds_read_b64 v[34:35], v141 offset:8704
	v_fmac_f32_e32 v8, v2, v55
	v_fma_f32 v2, v2, v56, -v0
	v_mul_f32_e32 v0, v29, v57
	v_fma_f32 v9, v28, v58, -v0
	s_waitcnt lgkmcnt(3)
	v_mul_f32_e32 v0, v31, v59
	v_fma_f32 v17, v30, v60, -v0
	v_mul_f32_e32 v24, v21, v62
	v_mul_f32_e32 v0, v21, v61
	v_fmac_f32_e32 v24, v20, v61
	v_fma_f32 v20, v20, v62, -v0
	s_waitcnt lgkmcnt(2)
	v_mul_f32_e32 v21, v23, v100
	v_mul_f32_e32 v0, v23, v99
	v_fmac_f32_e32 v21, v22, v99
	v_fma_f32 v22, v22, v100, -v0
	v_mul_f32_e32 v23, v13, v102
	v_mul_f32_e32 v0, v13, v101
	v_fmac_f32_e32 v23, v12, v101
	v_fma_f32 v12, v12, v102, -v0
	s_waitcnt lgkmcnt(1)
	v_mul_f32_e32 v13, v15, v104
	v_mul_f32_e32 v0, v15, v103
	v_fmac_f32_e32 v13, v14, v103
	;; [unrolled: 9-line block ×3, first 2 shown]
	v_fma_f32 v6, v6, v35, -v0
	v_add_f32_e32 v0, v39, v63
	v_add_f32_e32 v1, v40, v41
	;; [unrolled: 1-line block ×12, first 2 shown]
	v_mul_f32_e32 v3, v29, v58
	v_add_f32_e32 v0, v0, v10
	v_add_f32_e32 v1, v1, v11
	v_fmac_f32_e32 v3, v28, v57
	v_mul_f32_e32 v16, v31, v60
	v_add_f32_e32 v0, v0, v8
	v_add_f32_e32 v1, v1, v2
	v_fmac_f32_e32 v16, v30, v59
	v_add_f32_e32 v0, v0, v3
	v_add_f32_e32 v1, v1, v9
	;; [unrolled: 1-line block ×18, first 2 shown]
	v_sub_f32_e32 v5, v63, v5
	v_sub_f32_e32 v6, v41, v6
	v_mul_f32_e32 v31, 0x3f6eb680, v28
	v_mul_f32_e32 v47, 0x3f3d2fb0, v28
	;; [unrolled: 1-line block ×9, first 2 shown]
	v_mov_b32_e32 v34, v31
	v_mul_f32_e32 v35, 0xbf2c7751, v6
	v_mov_b32_e32 v48, v47
	v_mul_f32_e32 v49, 0xbf65296c, v6
	;; [unrolled: 2-line block ×7, first 2 shown]
	v_mov_b32_e32 v105, v28
	v_fmac_f32_e32 v28, 0xbe3c28d5, v5
	v_mov_b32_e32 v30, v29
	v_fmac_f32_e32 v34, 0x3eb8f4ab, v5
	v_fmac_f32_e32 v31, 0xbeb8f4ab, v5
	v_mov_b32_e32 v41, v35
	v_fmac_f32_e32 v48, 0x3f2c7751, v5
	v_fmac_f32_e32 v47, 0xbf2c7751, v5
	s_mov_b32 s3, 0x3ee437d1
	v_mov_b32_e32 v50, v49
	v_fmac_f32_e32 v52, 0x3f65296c, v5
	v_fmac_f32_e32 v51, 0xbf65296c, v5
	s_mov_b32 s2, 0x3dbcf732
	v_mov_b32_e32 v54, v53
	v_fmac_f32_e32 v56, 0x3f7ee86f, v5
	v_fmac_f32_e32 v55, 0xbf7ee86f, v5
	v_mov_b32_e32 v58, v57
	v_fmac_f32_e32 v60, 0x3f763a35, v5
	v_fmac_f32_e32 v59, 0xbf763a35, v5
	;; [unrolled: 3-line block ×4, first 2 shown]
	v_mov_b32_e32 v104, v6
	v_fmac_f32_e32 v105, 0x3e3c28d5, v5
	v_add_f32_e32 v5, v40, v28
	v_add_f32_e32 v28, v27, v4
	v_sub_f32_e32 v4, v27, v4
	v_fmac_f32_e32 v30, 0x3f6eb680, v7
	v_fma_f32 v29, v7, s10, -v29
	v_fmac_f32_e32 v41, 0x3f3d2fb0, v7
	v_fma_f32 v35, v7, s8, -v35
	;; [unrolled: 2-line block ×8, first 2 shown]
	v_mul_f32_e32 v27, 0xbf2c7751, v4
	v_add_f32_e32 v30, v39, v30
	v_add_f32_e32 v29, v39, v29
	;; [unrolled: 1-line block ×17, first 2 shown]
	v_mov_b32_e32 v39, v27
	v_fmac_f32_e32 v39, 0x3f3d2fb0, v7
	v_sub_f32_e32 v15, v42, v15
	v_add_f32_e32 v30, v39, v30
	v_mul_f32_e32 v39, 0x3f3d2fb0, v28
	v_add_f32_e32 v34, v40, v34
	v_add_f32_e32 v31, v40, v31
	;; [unrolled: 1-line block ×15, first 2 shown]
	v_mov_b32_e32 v40, v39
	v_fma_f32 v27, v7, s8, -v27
	v_fmac_f32_e32 v39, 0xbf2c7751, v15
	v_add_f32_e32 v27, v27, v29
	v_add_f32_e32 v29, v39, v31
	v_mul_f32_e32 v31, 0xbf7ee86f, v4
	v_fmac_f32_e32 v40, 0x3f2c7751, v15
	v_mov_b32_e32 v39, v31
	v_add_f32_e32 v34, v40, v34
	v_fmac_f32_e32 v39, 0x3dbcf732, v7
	v_mul_f32_e32 v40, 0x3dbcf732, v28
	v_add_f32_e32 v39, v39, v41
	v_mov_b32_e32 v41, v40
	v_fma_f32 v31, v7, s2, -v31
	v_fmac_f32_e32 v40, 0xbf7ee86f, v15
	v_add_f32_e32 v31, v31, v35
	v_add_f32_e32 v35, v40, v47
	v_mul_f32_e32 v40, 0xbf4c4adb, v4
	v_mov_b32_e32 v42, v40
	v_fma_f32 v40, v7, s11, -v40
	v_fmac_f32_e32 v41, 0x3f7ee86f, v15
	v_fmac_f32_e32 v42, 0xbf1a4643, v7
	v_mul_f32_e32 v47, 0xbf1a4643, v28
	v_add_f32_e32 v40, v40, v49
	v_mul_f32_e32 v49, 0xbe3c28d5, v4
	v_add_f32_e32 v41, v41, v48
	v_add_f32_e32 v42, v42, v50
	v_mov_b32_e32 v48, v47
	v_fmac_f32_e32 v47, 0xbf4c4adb, v15
	v_mov_b32_e32 v50, v49
	v_fma_f32 v49, v7, s13, -v49
	v_fmac_f32_e32 v48, 0x3f4c4adb, v15
	v_add_f32_e32 v47, v47, v51
	v_fmac_f32_e32 v50, 0xbf7ba420, v7
	v_mul_f32_e32 v51, 0xbf7ba420, v28
	v_add_f32_e32 v49, v49, v53
	v_mul_f32_e32 v53, 0x3f06c442, v4
	v_add_f32_e32 v48, v48, v52
	v_add_f32_e32 v50, v50, v54
	v_mov_b32_e32 v52, v51
	v_fmac_f32_e32 v51, 0xbe3c28d5, v15
	v_mov_b32_e32 v54, v53
	v_fma_f32 v53, v7, s12, -v53
	v_fmac_f32_e32 v52, 0x3e3c28d5, v15
	v_add_f32_e32 v51, v51, v55
	;; [unrolled: 12-line block ×3, first 2 shown]
	v_fmac_f32_e32 v58, 0xbe8c1d8e, v7
	v_mul_f32_e32 v59, 0xbe8c1d8e, v28
	v_add_f32_e32 v57, v57, v61
	v_mul_f32_e32 v61, 0x3f65296c, v4
	v_add_f32_e32 v56, v56, v60
	v_add_f32_e32 v58, v58, v62
	v_mov_b32_e32 v60, v59
	v_fmac_f32_e32 v59, 0x3f763a35, v15
	v_mov_b32_e32 v62, v61
	v_fma_f32 v61, v7, s3, -v61
	v_mul_f32_e32 v4, 0x3eb8f4ab, v4
	v_fmac_f32_e32 v60, 0xbf763a35, v15
	v_add_f32_e32 v59, v59, v63
	v_fmac_f32_e32 v62, 0x3ee437d1, v7
	v_mul_f32_e32 v63, 0x3ee437d1, v28
	v_add_f32_e32 v61, v61, v100
	v_mov_b32_e32 v100, v4
	v_mul_f32_e32 v28, 0x3f6eb680, v28
	v_add_f32_e32 v60, v60, v99
	v_add_f32_e32 v62, v62, v101
	v_mov_b32_e32 v99, v63
	v_fmac_f32_e32 v100, 0x3f6eb680, v7
	v_mov_b32_e32 v101, v28
	v_fma_f32 v4, v7, s10, -v4
	v_add_f32_e32 v7, v44, v14
	v_sub_f32_e32 v14, v44, v14
	v_fmac_f32_e32 v99, 0xbf65296c, v15
	v_fmac_f32_e32 v63, 0x3f65296c, v15
	;; [unrolled: 1-line block ×4, first 2 shown]
	v_mul_f32_e32 v15, 0xbf65296c, v14
	v_add_f32_e32 v4, v4, v6
	v_add_f32_e32 v5, v28, v5
	;; [unrolled: 1-line block ×3, first 2 shown]
	v_mov_b32_e32 v28, v15
	v_fmac_f32_e32 v28, 0x3ee437d1, v6
	v_sub_f32_e32 v13, v43, v13
	v_add_f32_e32 v28, v28, v30
	v_mul_f32_e32 v30, 0x3ee437d1, v7
	v_mov_b32_e32 v43, v30
	v_fma_f32 v15, v6, s3, -v15
	v_fmac_f32_e32 v30, 0xbf65296c, v13
	v_add_f32_e32 v15, v15, v27
	v_add_f32_e32 v27, v30, v29
	v_mul_f32_e32 v29, 0xbf4c4adb, v14
	v_mov_b32_e32 v30, v29
	v_fmac_f32_e32 v30, 0xbf1a4643, v6
	v_fmac_f32_e32 v43, 0x3f65296c, v13
	v_add_f32_e32 v30, v30, v39
	v_mul_f32_e32 v39, 0xbf1a4643, v7
	v_add_f32_e32 v34, v43, v34
	v_mov_b32_e32 v43, v39
	v_fma_f32 v29, v6, s11, -v29
	v_fmac_f32_e32 v39, 0xbf4c4adb, v13
	v_add_f32_e32 v29, v29, v31
	v_add_f32_e32 v31, v39, v35
	v_mul_f32_e32 v35, 0x3e3c28d5, v14
	v_mov_b32_e32 v39, v35
	v_fmac_f32_e32 v39, 0xbf7ba420, v6
	v_fmac_f32_e32 v43, 0x3f4c4adb, v13
	v_add_f32_e32 v39, v39, v42
	v_mul_f32_e32 v42, 0xbf7ba420, v7
	v_add_f32_e32 v41, v43, v41
	v_mov_b32_e32 v43, v42
	v_fma_f32 v35, v6, s13, -v35
	v_fmac_f32_e32 v42, 0x3e3c28d5, v13
	v_add_f32_e32 v35, v35, v40
	v_add_f32_e32 v40, v42, v47
	v_mul_f32_e32 v42, 0x3f763a35, v14
	v_mov_b32_e32 v44, v42
	v_fma_f32 v42, v6, s9, -v42
	v_fmac_f32_e32 v43, 0xbe3c28d5, v13
	v_fmac_f32_e32 v44, 0xbe8c1d8e, v6
	v_mul_f32_e32 v47, 0xbe8c1d8e, v7
	v_add_f32_e32 v42, v42, v49
	v_mul_f32_e32 v49, 0x3f2c7751, v14
	v_add_f32_e32 v43, v43, v48
	v_add_f32_e32 v44, v44, v50
	v_mov_b32_e32 v48, v47
	v_fmac_f32_e32 v47, 0x3f763a35, v13
	v_mov_b32_e32 v50, v49
	v_fma_f32 v49, v6, s8, -v49
	v_fmac_f32_e32 v48, 0xbf763a35, v13
	v_add_f32_e32 v47, v47, v51
	v_fmac_f32_e32 v50, 0x3f3d2fb0, v6
	v_mul_f32_e32 v51, 0x3f3d2fb0, v7
	v_add_f32_e32 v49, v49, v53
	v_mul_f32_e32 v53, 0xbeb8f4ab, v14
	v_add_f32_e32 v48, v48, v52
	v_add_f32_e32 v50, v50, v54
	v_mov_b32_e32 v52, v51
	v_fmac_f32_e32 v51, 0x3f2c7751, v13
	v_mov_b32_e32 v54, v53
	v_fma_f32 v53, v6, s10, -v53
	v_fmac_f32_e32 v52, 0xbf2c7751, v13
	v_add_f32_e32 v51, v51, v55
	v_fmac_f32_e32 v54, 0x3f6eb680, v6
	v_mul_f32_e32 v55, 0x3f6eb680, v7
	v_add_f32_e32 v53, v53, v57
	v_mul_f32_e32 v57, 0xbf7ee86f, v14
	v_add_f32_e32 v52, v52, v56
	v_add_f32_e32 v54, v54, v58
	v_mov_b32_e32 v56, v55
	v_fmac_f32_e32 v55, 0xbeb8f4ab, v13
	v_mov_b32_e32 v58, v57
	v_add_f32_e32 v55, v55, v59
	v_fmac_f32_e32 v58, 0x3dbcf732, v6
	v_mul_f32_e32 v59, 0x3dbcf732, v7
	v_mul_f32_e32 v7, 0xbf59a7d5, v7
	v_add_f32_e32 v58, v58, v62
	v_fma_f32 v57, v6, s2, -v57
	v_mul_f32_e32 v14, 0xbf06c442, v14
	v_mov_b32_e32 v62, v7
	v_fmac_f32_e32 v7, 0xbf06c442, v13
	v_fmac_f32_e32 v56, 0x3eb8f4ab, v13
	v_add_f32_e32 v57, v57, v61
	v_mov_b32_e32 v61, v14
	v_add_f32_e32 v5, v7, v5
	v_add_f32_e32 v7, v46, v12
	v_sub_f32_e32 v12, v46, v12
	v_add_f32_e32 v56, v56, v60
	v_mov_b32_e32 v60, v59
	v_fmac_f32_e32 v61, 0xbf59a7d5, v6
	v_fma_f32 v6, v6, s12, -v14
	v_mul_f32_e32 v14, 0xbf7ee86f, v12
	v_fmac_f32_e32 v60, 0x3f7ee86f, v13
	v_fmac_f32_e32 v59, 0xbf7ee86f, v13
	;; [unrolled: 1-line block ×3, first 2 shown]
	v_add_f32_e32 v4, v6, v4
	v_add_f32_e32 v6, v45, v23
	v_sub_f32_e32 v13, v45, v23
	v_mov_b32_e32 v23, v14
	v_fmac_f32_e32 v23, 0x3dbcf732, v6
	v_add_f32_e32 v23, v23, v28
	v_mul_f32_e32 v28, 0x3dbcf732, v7
	v_mov_b32_e32 v45, v28
	v_fma_f32 v14, v6, s2, -v14
	v_fmac_f32_e32 v28, 0xbf7ee86f, v13
	v_add_f32_e32 v14, v14, v15
	v_add_f32_e32 v15, v28, v27
	v_mul_f32_e32 v27, 0xbe3c28d5, v12
	v_mov_b32_e32 v28, v27
	v_fmac_f32_e32 v28, 0xbf7ba420, v6
	v_fmac_f32_e32 v45, 0x3f7ee86f, v13
	v_add_f32_e32 v28, v28, v30
	v_mul_f32_e32 v30, 0xbf7ba420, v7
	v_add_f32_e32 v34, v45, v34
	v_mov_b32_e32 v45, v30
	v_fma_f32 v27, v6, s13, -v27
	v_fmac_f32_e32 v30, 0xbe3c28d5, v13
	v_add_f32_e32 v27, v27, v29
	v_add_f32_e32 v29, v30, v31
	v_mul_f32_e32 v30, 0x3f763a35, v12
	v_mov_b32_e32 v31, v30
	v_fmac_f32_e32 v31, 0xbe8c1d8e, v6
	v_fmac_f32_e32 v45, 0x3e3c28d5, v13
	v_add_f32_e32 v31, v31, v39
	v_mul_f32_e32 v39, 0xbe8c1d8e, v7
	v_add_f32_e32 v41, v45, v41
	;; [unrolled: 12-line block ×3, first 2 shown]
	v_mov_b32_e32 v45, v44
	v_fma_f32 v39, v6, s10, -v39
	v_fmac_f32_e32 v44, 0x3eb8f4ab, v13
	v_add_f32_e32 v39, v39, v42
	v_add_f32_e32 v42, v44, v47
	v_mul_f32_e32 v44, 0xbf65296c, v12
	v_mov_b32_e32 v46, v44
	v_fma_f32 v44, v6, s3, -v44
	v_fmac_f32_e32 v45, 0xbeb8f4ab, v13
	v_fmac_f32_e32 v46, 0x3ee437d1, v6
	v_mul_f32_e32 v47, 0x3ee437d1, v7
	v_add_f32_e32 v44, v44, v49
	v_mul_f32_e32 v49, 0xbf06c442, v12
	v_add_f32_e32 v45, v45, v48
	v_add_f32_e32 v46, v46, v50
	v_mov_b32_e32 v48, v47
	v_fmac_f32_e32 v47, 0xbf65296c, v13
	v_mov_b32_e32 v50, v49
	v_fma_f32 v49, v6, s12, -v49
	v_fmac_f32_e32 v48, 0x3f65296c, v13
	v_add_f32_e32 v47, v47, v51
	v_fmac_f32_e32 v50, 0xbf59a7d5, v6
	v_mul_f32_e32 v51, 0xbf59a7d5, v7
	v_add_f32_e32 v49, v49, v53
	v_mul_f32_e32 v53, 0x3f4c4adb, v12
	v_add_f32_e32 v48, v48, v52
	v_add_f32_e32 v50, v50, v54
	v_mov_b32_e32 v52, v51
	v_fmac_f32_e32 v51, 0xbf06c442, v13
	v_mov_b32_e32 v54, v53
	v_fmac_f32_e32 v52, 0x3f06c442, v13
	v_add_f32_e32 v51, v51, v55
	v_fmac_f32_e32 v54, 0xbf1a4643, v6
	v_mul_f32_e32 v55, 0xbf1a4643, v7
	v_fma_f32 v53, v6, s11, -v53
	v_mul_f32_e32 v12, 0x3f2c7751, v12
	v_mul_f32_e32 v7, 0x3f3d2fb0, v7
	v_add_f32_e32 v52, v52, v56
	v_add_f32_e32 v54, v54, v58
	v_mov_b32_e32 v56, v55
	v_add_f32_e32 v53, v53, v57
	v_mov_b32_e32 v57, v12
	v_mov_b32_e32 v58, v7
	v_fmac_f32_e32 v56, 0xbf4c4adb, v13
	v_fmac_f32_e32 v55, 0x3f4c4adb, v13
	;; [unrolled: 1-line block ×4, first 2 shown]
	v_fma_f32 v6, v6, s8, -v12
	v_fmac_f32_e32 v7, 0x3f2c7751, v13
	v_sub_f32_e32 v13, v26, v22
	v_add_f32_e32 v4, v6, v4
	v_add_f32_e32 v6, v25, v21
	v_sub_f32_e32 v12, v25, v21
	v_mul_f32_e32 v21, 0xbf763a35, v13
	v_add_f32_e32 v5, v7, v5
	v_add_f32_e32 v7, v26, v22
	v_mov_b32_e32 v22, v21
	v_fmac_f32_e32 v22, 0xbe8c1d8e, v6
	v_add_f32_e32 v22, v22, v23
	v_mul_f32_e32 v23, 0xbe8c1d8e, v7
	v_fma_f32 v21, v6, s9, -v21
	v_mov_b32_e32 v25, v23
	v_add_f32_e32 v14, v21, v14
	v_fmac_f32_e32 v23, 0xbf763a35, v12
	v_mul_f32_e32 v21, 0x3f06c442, v13
	v_add_f32_e32 v15, v23, v15
	v_mov_b32_e32 v23, v21
	v_fmac_f32_e32 v23, 0xbf59a7d5, v6
	v_mul_f32_e32 v26, 0xbf59a7d5, v7
	v_fma_f32 v21, v6, s12, -v21
	v_add_f32_e32 v23, v23, v28
	v_mov_b32_e32 v28, v26
	v_add_f32_e32 v21, v21, v27
	v_fmac_f32_e32 v26, 0x3f06c442, v12
	v_mul_f32_e32 v27, 0x3f2c7751, v13
	v_add_f32_e32 v26, v26, v29
	v_mov_b32_e32 v29, v27
	v_fmac_f32_e32 v29, 0x3f3d2fb0, v6
	v_fmac_f32_e32 v25, 0x3f763a35, v12
	v_add_f32_e32 v29, v29, v31
	v_mul_f32_e32 v31, 0x3f3d2fb0, v7
	v_add_f32_e32 v25, v25, v34
	v_mov_b32_e32 v34, v31
	v_fma_f32 v27, v6, s8, -v27
	v_fmac_f32_e32 v31, 0x3f2c7751, v12
	v_add_f32_e32 v27, v27, v30
	v_add_f32_e32 v30, v31, v35
	v_mul_f32_e32 v31, 0xbf65296c, v13
	v_mov_b32_e32 v35, v31
	v_fmac_f32_e32 v35, 0x3ee437d1, v6
	v_fmac_f32_e32 v28, 0xbf06c442, v12
	v_add_f32_e32 v35, v35, v40
	v_mul_f32_e32 v40, 0x3ee437d1, v7
	v_add_f32_e32 v28, v28, v41
	v_mov_b32_e32 v41, v40
	v_fma_f32 v31, v6, s3, -v31
	v_fmac_f32_e32 v40, 0xbf65296c, v12
	v_add_f32_e32 v31, v31, v39
	v_add_f32_e32 v39, v40, v42
	v_mul_f32_e32 v40, 0xbe3c28d5, v13
	v_fmac_f32_e32 v34, 0xbf2c7751, v12
	v_mov_b32_e32 v42, v40
	v_fma_f32 v40, v6, s13, -v40
	v_add_f32_e32 v34, v34, v43
	v_fmac_f32_e32 v41, 0x3f65296c, v12
	v_fmac_f32_e32 v42, 0xbf7ba420, v6
	v_mul_f32_e32 v43, 0xbf7ba420, v7
	v_add_f32_e32 v40, v40, v44
	v_mul_f32_e32 v44, 0x3f7ee86f, v13
	v_add_f32_e32 v41, v41, v45
	v_add_f32_e32 v42, v42, v46
	v_mov_b32_e32 v45, v43
	v_fmac_f32_e32 v43, 0xbe3c28d5, v12
	v_mov_b32_e32 v46, v44
	v_fma_f32 v44, v6, s2, -v44
	v_fmac_f32_e32 v45, 0x3e3c28d5, v12
	v_add_f32_e32 v43, v43, v47
	v_fmac_f32_e32 v46, 0x3dbcf732, v6
	v_mul_f32_e32 v47, 0x3dbcf732, v7
	v_add_f32_e32 v44, v44, v49
	v_mul_f32_e32 v49, 0xbeb8f4ab, v13
	v_add_f32_e32 v45, v45, v48
	v_add_f32_e32 v46, v46, v50
	v_mov_b32_e32 v48, v47
	v_fmac_f32_e32 v47, 0x3f7ee86f, v12
	v_mov_b32_e32 v50, v49
	v_fma_f32 v49, v6, s10, -v49
	v_mul_f32_e32 v13, 0xbf4c4adb, v13
	v_fmac_f32_e32 v48, 0xbf7ee86f, v12
	v_add_f32_e32 v47, v47, v51
	v_fmac_f32_e32 v50, 0x3f6eb680, v6
	v_mul_f32_e32 v51, 0x3f6eb680, v7
	v_add_f32_e32 v49, v49, v53
	v_mov_b32_e32 v53, v13
	v_mul_f32_e32 v7, 0xbf1a4643, v7
	v_add_f32_e32 v48, v48, v52
	v_add_f32_e32 v50, v50, v54
	v_mov_b32_e32 v52, v51
	v_fmac_f32_e32 v53, 0xbf1a4643, v6
	v_mov_b32_e32 v54, v7
	v_fma_f32 v6, v6, s11, -v13
	v_sub_f32_e32 v13, v19, v20
	v_fmac_f32_e32 v52, 0x3eb8f4ab, v12
	v_fmac_f32_e32 v51, 0xbeb8f4ab, v12
	;; [unrolled: 1-line block ×3, first 2 shown]
	v_add_f32_e32 v4, v6, v4
	v_fmac_f32_e32 v7, 0xbf4c4adb, v12
	v_add_f32_e32 v6, v18, v24
	v_sub_f32_e32 v12, v18, v24
	v_mul_f32_e32 v18, 0xbf4c4adb, v13
	v_add_f32_e32 v5, v7, v5
	v_add_f32_e32 v7, v19, v20
	v_mov_b32_e32 v19, v18
	v_fmac_f32_e32 v19, 0xbf1a4643, v6
	v_mul_f32_e32 v20, 0xbf1a4643, v7
	v_fma_f32 v18, v6, s11, -v18
	v_add_f32_e32 v19, v19, v22
	v_mov_b32_e32 v22, v20
	v_add_f32_e32 v14, v18, v14
	v_fmac_f32_e32 v20, 0xbf4c4adb, v12
	v_mul_f32_e32 v18, 0x3f763a35, v13
	v_add_f32_e32 v15, v20, v15
	v_mov_b32_e32 v20, v18
	v_fmac_f32_e32 v20, 0xbe8c1d8e, v6
	v_add_f32_e32 v20, v20, v23
	v_mul_f32_e32 v23, 0xbe8c1d8e, v7
	v_mov_b32_e32 v24, v23
	v_fma_f32 v18, v6, s9, -v18
	v_fmac_f32_e32 v23, 0x3f763a35, v12
	v_fmac_f32_e32 v22, 0x3f4c4adb, v12
	v_add_f32_e32 v18, v18, v21
	v_add_f32_e32 v21, v23, v26
	v_mul_f32_e32 v23, 0xbeb8f4ab, v13
	v_add_f32_e32 v22, v22, v25
	v_mov_b32_e32 v25, v23
	v_fma_f32 v23, v6, s10, -v23
	v_fmac_f32_e32 v24, 0xbf763a35, v12
	v_fmac_f32_e32 v25, 0x3f6eb680, v6
	v_mul_f32_e32 v26, 0x3f6eb680, v7
	v_add_f32_e32 v23, v23, v27
	v_mul_f32_e32 v27, 0xbf06c442, v13
	v_add_f32_e32 v24, v24, v28
	v_add_f32_e32 v25, v25, v29
	v_mov_b32_e32 v28, v26
	v_fmac_f32_e32 v26, 0xbeb8f4ab, v12
	v_mov_b32_e32 v29, v27
	v_fma_f32 v27, v6, s12, -v27
	v_fmac_f32_e32 v28, 0x3eb8f4ab, v12
	v_add_f32_e32 v26, v26, v30
	v_fmac_f32_e32 v29, 0xbf59a7d5, v6
	v_mul_f32_e32 v30, 0xbf59a7d5, v7
	v_add_f32_e32 v27, v27, v31
	v_mul_f32_e32 v31, 0x3f7ee86f, v13
	v_add_f32_e32 v28, v28, v34
	v_add_f32_e32 v29, v29, v35
	v_mov_b32_e32 v34, v30
	v_fmac_f32_e32 v30, 0xbf06c442, v12
	v_mov_b32_e32 v35, v31
	v_fma_f32 v31, v6, s2, -v31
	v_fmac_f32_e32 v34, 0x3f06c442, v12
	v_add_f32_e32 v30, v30, v39
	;; [unrolled: 12-line block ×3, first 2 shown]
	v_fmac_f32_e32 v42, 0x3f3d2fb0, v6
	v_mul_f32_e32 v43, 0x3f3d2fb0, v7
	v_add_f32_e32 v40, v40, v44
	v_mul_f32_e32 v44, 0xbe3c28d5, v13
	v_add_f32_e32 v41, v41, v45
	v_add_f32_e32 v42, v42, v46
	v_mov_b32_e32 v45, v43
	v_fmac_f32_e32 v43, 0xbf2c7751, v12
	v_mov_b32_e32 v46, v44
	v_add_f32_e32 v43, v43, v47
	v_fmac_f32_e32 v46, 0xbf7ba420, v6
	v_mul_f32_e32 v47, 0xbf7ba420, v7
	v_fma_f32 v44, v6, s13, -v44
	v_mul_f32_e32 v13, 0x3f65296c, v13
	v_mul_f32_e32 v7, 0x3ee437d1, v7
	v_fmac_f32_e32 v45, 0x3f2c7751, v12
	v_add_f32_e32 v46, v46, v50
	v_add_f32_e32 v44, v44, v49
	v_mov_b32_e32 v49, v13
	v_mov_b32_e32 v50, v7
	v_fmac_f32_e32 v7, 0x3f65296c, v12
	v_add_f32_e32 v45, v45, v48
	v_mov_b32_e32 v48, v47
	v_fmac_f32_e32 v49, 0x3ee437d1, v6
	v_fma_f32 v6, v6, s3, -v13
	v_add_f32_e32 v5, v7, v5
	v_add_f32_e32 v7, v11, v17
	v_sub_f32_e32 v11, v11, v17
	v_fmac_f32_e32 v48, 0x3e3c28d5, v12
	v_fmac_f32_e32 v47, 0xbe3c28d5, v12
	;; [unrolled: 1-line block ×3, first 2 shown]
	v_add_f32_e32 v4, v6, v4
	v_add_f32_e32 v6, v10, v16
	v_sub_f32_e32 v10, v10, v16
	v_mul_f32_e32 v12, 0xbf06c442, v11
	v_mul_f32_e32 v16, 0xbf59a7d5, v7
	v_mov_b32_e32 v13, v12
	v_mov_b32_e32 v17, v16
	v_fma_f32 v12, v6, s12, -v12
	v_fmac_f32_e32 v16, 0xbf06c442, v10
	v_add_f32_e32 v12, v12, v14
	v_add_f32_e32 v14, v16, v15
	v_mul_f32_e32 v15, 0x3f65296c, v11
	v_fmac_f32_e32 v13, 0xbf59a7d5, v6
	v_mov_b32_e32 v16, v15
	v_add_f32_e32 v13, v13, v19
	v_fmac_f32_e32 v16, 0x3ee437d1, v6
	v_mul_f32_e32 v19, 0x3ee437d1, v7
	v_fmac_f32_e32 v17, 0x3f06c442, v10
	v_add_f32_e32 v16, v16, v20
	v_mov_b32_e32 v20, v19
	v_fma_f32 v15, v6, s3, -v15
	v_fmac_f32_e32 v19, 0x3f65296c, v10
	v_add_f32_e32 v17, v17, v22
	v_fmac_f32_e32 v20, 0xbf65296c, v10
	v_add_f32_e32 v15, v15, v18
	v_add_f32_e32 v18, v19, v21
	v_mul_f32_e32 v19, 0xbf7ee86f, v11
	v_mul_f32_e32 v22, 0x3dbcf732, v7
	v_add_f32_e32 v20, v20, v24
	v_mov_b32_e32 v21, v19
	v_mov_b32_e32 v24, v22
	v_fma_f32 v19, v6, s2, -v19
	v_fmac_f32_e32 v22, 0xbf7ee86f, v10
	v_fmac_f32_e32 v21, 0x3dbcf732, v6
	;; [unrolled: 1-line block ×3, first 2 shown]
	v_add_f32_e32 v19, v19, v23
	v_add_f32_e32 v22, v22, v26
	v_mul_f32_e32 v23, 0x3f4c4adb, v11
	v_mul_f32_e32 v26, 0xbf1a4643, v7
	v_add_f32_e32 v21, v21, v25
	v_add_f32_e32 v24, v24, v28
	v_mov_b32_e32 v25, v23
	v_mov_b32_e32 v28, v26
	v_fma_f32 v23, v6, s11, -v23
	v_fmac_f32_e32 v26, 0x3f4c4adb, v10
	v_fmac_f32_e32 v25, 0xbf1a4643, v6
	;; [unrolled: 1-line block ×3, first 2 shown]
	v_add_f32_e32 v23, v23, v27
	v_add_f32_e32 v26, v26, v30
	v_mul_f32_e32 v27, 0xbeb8f4ab, v11
	v_mul_f32_e32 v30, 0x3f6eb680, v7
	v_add_f32_e32 v25, v25, v29
	v_add_f32_e32 v28, v28, v34
	v_mov_b32_e32 v29, v27
	v_mov_b32_e32 v34, v30
	v_fma_f32 v27, v6, s10, -v27
	v_fmac_f32_e32 v34, 0x3eb8f4ab, v10
	v_add_f32_e32 v27, v27, v31
	v_mul_f32_e32 v31, 0xbe3c28d5, v11
	v_add_f32_e32 v41, v34, v41
	v_mov_b32_e32 v34, v31
	v_fmac_f32_e32 v30, 0xbeb8f4ab, v10
	v_fmac_f32_e32 v34, 0xbf7ba420, v6
	;; [unrolled: 1-line block ×3, first 2 shown]
	v_add_f32_e32 v30, v30, v39
	v_add_f32_e32 v39, v34, v42
	v_mul_f32_e32 v34, 0xbf7ba420, v7
	v_add_f32_e32 v29, v29, v35
	v_mov_b32_e32 v35, v34
	v_fma_f32 v31, v6, s13, -v31
	v_fmac_f32_e32 v34, 0xbe3c28d5, v10
	v_add_f32_e32 v63, v63, v102
	v_add_f32_e32 v100, v100, v104
	v_fmac_f32_e32 v35, 0x3e3c28d5, v10
	v_add_f32_e32 v31, v31, v40
	v_add_f32_e32 v40, v34, v43
	v_mul_f32_e32 v34, 0x3f2c7751, v11
	v_add_f32_e32 v59, v59, v63
	v_add_f32_e32 v61, v61, v100
	;; [unrolled: 1-line block ×3, first 2 shown]
	v_mov_b32_e32 v35, v34
	v_add_f32_e32 v99, v99, v103
	v_add_f32_e32 v101, v101, v105
	;; [unrolled: 1-line block ×4, first 2 shown]
	v_fmac_f32_e32 v35, 0x3f3d2fb0, v6
	v_fma_f32 v34, v6, s8, -v34
	v_mul_f32_e32 v11, 0xbf763a35, v11
	v_add_f32_e32 v60, v60, v99
	v_add_f32_e32 v62, v62, v101
	;; [unrolled: 1-line block ×5, first 2 shown]
	v_mul_f32_e32 v35, 0x3f3d2fb0, v7
	v_add_f32_e32 v44, v34, v44
	v_mov_b32_e32 v34, v11
	v_add_f32_e32 v56, v56, v60
	v_add_f32_e32 v58, v58, v62
	;; [unrolled: 1-line block ×4, first 2 shown]
	v_mov_b32_e32 v45, v35
	v_fmac_f32_e32 v35, 0x3f2c7751, v10
	v_fmac_f32_e32 v34, 0xbe8c1d8e, v6
	v_mul_f32_e32 v7, 0xbe8c1d8e, v7
	v_add_f32_e32 v52, v52, v56
	v_add_f32_e32 v54, v54, v58
	v_add_f32_e32 v46, v35, v47
	v_add_f32_e32 v47, v34, v49
	v_mov_b32_e32 v34, v7
	v_add_f32_e32 v48, v48, v52
	v_add_f32_e32 v50, v50, v54
	v_fmac_f32_e32 v45, 0xbf2c7751, v10
	v_fmac_f32_e32 v34, 0x3f763a35, v10
	v_fma_f32 v6, v6, s9, -v11
	v_fmac_f32_e32 v7, 0xbf763a35, v10
	v_add_f32_e32 v52, v2, v9
	v_sub_f32_e32 v54, v2, v9
	v_add_f32_e32 v45, v45, v48
	v_add_f32_e32 v48, v34, v50
	;; [unrolled: 1-line block ×5, first 2 shown]
	v_sub_f32_e32 v53, v8, v3
	v_mul_f32_e32 v4, 0xbe3c28d5, v54
	v_mul_f32_e32 v5, 0xbf7ba420, v52
	v_mov_b32_e32 v2, v4
	v_mov_b32_e32 v3, v5
	v_fma_f32 v4, v51, s13, -v4
	v_fmac_f32_e32 v5, 0xbe3c28d5, v53
	v_mul_f32_e32 v6, 0x3eb8f4ab, v54
	v_mul_f32_e32 v7, 0x3f6eb680, v52
	;; [unrolled: 1-line block ×4, first 2 shown]
	v_add_f32_e32 v34, v4, v12
	v_add_f32_e32 v35, v5, v14
	v_mov_b32_e32 v4, v6
	v_mov_b32_e32 v5, v7
	v_fma_f32 v6, v51, s10, -v6
	v_fmac_f32_e32 v7, 0x3eb8f4ab, v53
	v_mov_b32_e32 v8, v10
	v_mov_b32_e32 v9, v11
	v_fma_f32 v10, v51, s12, -v10
	v_fmac_f32_e32 v11, 0xbf06c442, v53
	v_fmac_f32_e32 v2, 0xbf7ba420, v51
	;; [unrolled: 1-line block ×5, first 2 shown]
	v_add_f32_e32 v6, v6, v15
	v_add_f32_e32 v7, v7, v18
	;; [unrolled: 1-line block ×4, first 2 shown]
	v_mul_f32_e32 v14, 0x3f2c7751, v54
	v_mul_f32_e32 v15, 0x3f3d2fb0, v52
	;; [unrolled: 1-line block ×5, first 2 shown]
	v_add_f32_e32 v2, v2, v13
	v_add_f32_e32 v3, v3, v17
	;; [unrolled: 1-line block ×4, first 2 shown]
	v_mov_b32_e32 v12, v14
	v_mov_b32_e32 v13, v15
	v_fma_f32 v14, v51, s8, -v14
	v_fmac_f32_e32 v15, 0x3f2c7751, v53
	v_mov_b32_e32 v16, v18
	v_mov_b32_e32 v17, v19
	v_fma_f32 v18, v51, s11, -v18
	v_fmac_f32_e32 v19, 0xbf4c4adb, v53
	v_mov_b32_e32 v20, v22
	v_fma_f32 v22, v51, s3, -v22
	v_fmac_f32_e32 v8, 0xbf59a7d5, v51
	v_fmac_f32_e32 v9, 0x3f06c442, v53
	;; [unrolled: 1-line block ×4, first 2 shown]
	v_add_f32_e32 v14, v14, v23
	v_add_f32_e32 v15, v15, v26
	v_fmac_f32_e32 v16, 0xbf1a4643, v51
	v_add_f32_e32 v18, v18, v27
	v_add_f32_e32 v19, v19, v30
	v_mul_f32_e32 v23, 0x3ee437d1, v52
	v_add_f32_e32 v22, v22, v31
	v_mul_f32_e32 v26, 0xbf763a35, v54
	v_mul_f32_e32 v27, 0xbe8c1d8e, v52
	;; [unrolled: 1-line block ×4, first 2 shown]
	v_add_f32_e32 v8, v8, v21
	v_add_f32_e32 v9, v9, v24
	;; [unrolled: 1-line block ×5, first 2 shown]
	v_mov_b32_e32 v21, v23
	v_mov_b32_e32 v24, v26
	;; [unrolled: 1-line block ×5, first 2 shown]
	v_fmac_f32_e32 v17, 0x3f4c4adb, v53
	v_fmac_f32_e32 v20, 0x3ee437d1, v51
	;; [unrolled: 1-line block ×7, first 2 shown]
	v_fma_f32 v30, v51, s2, -v30
	v_fmac_f32_e32 v31, 0x3f7ee86f, v53
	v_add_f32_e32 v17, v17, v41
	v_add_f32_e32 v20, v20, v39
	;; [unrolled: 1-line block ×3, first 2 shown]
	v_fmac_f32_e32 v23, 0x3f65296c, v53
	v_add_f32_e32 v24, v24, v43
	v_add_f32_e32 v25, v25, v45
	v_fma_f32 v26, v51, s9, -v26
	v_fmac_f32_e32 v27, 0xbf763a35, v53
	v_add_f32_e32 v28, v28, v47
	v_add_f32_e32 v29, v29, v48
	v_add_f32_e32 v30, v30, v49
	v_add_f32_e32 v31, v31, v50
	s_barrier
	ds_write2_b64 v148, v[0:1], v[2:3] offset1:34
	ds_write2_b64 v148, v[4:5], v[8:9] offset0:68 offset1:102
	ds_write2_b64 v148, v[12:13], v[16:17] offset0:136 offset1:170
	;; [unrolled: 1-line block ×3, first 2 shown]
	v_add_u32_e32 v0, 0x800, v148
	v_add_f32_e32 v23, v23, v40
	v_add_f32_e32 v26, v26, v44
	;; [unrolled: 1-line block ×3, first 2 shown]
	ds_write2_b64 v0, v[28:29], v[30:31] offset0:16 offset1:50
	ds_write2_b64 v0, v[26:27], v[22:23] offset0:84 offset1:118
	ds_write2_b64 v0, v[18:19], v[14:15] offset0:152 offset1:186
	ds_write2_b64 v0, v[10:11], v[6:7] offset0:220 offset1:254
	ds_write_b64 v148, v[34:35] offset:4352
	v_add_u32_e32 v0, 0x1400, v141
	s_waitcnt lgkmcnt(0)
	s_barrier
	ds_read2_b64 v[12:15], v141 offset1:68
	ds_read2_b64 v[28:31], v38 offset0:66 offset1:134
	ds_read2_b64 v[8:11], v141 offset0:136 offset1:204
	;; [unrolled: 1-line block ×6, first 2 shown]
	v_add_u32_e32 v16, 0x1c00, v141
	ds_read2_b64 v[16:19], v16 offset0:90 offset1:158
	v_add_u32_e32 v38, 0xcc0, v141
	v_add_u32_e32 v37, 0xee0, v141
	s_and_saveexec_b64 s[2:3], s[0:1]
	s_cbranch_execz .LBB0_15
; %bb.14:
	ds_read_b64 v[34:35], v141 offset:4352
	ds_read_b64 v[32:33], v141 offset:8976
.LBB0_15:
	s_or_b64 exec, exec, s[2:3]
	s_waitcnt lgkmcnt(6)
	v_mul_f32_e32 v39, v120, v29
	v_fmac_f32_e32 v39, v119, v28
	v_mul_f32_e32 v28, v120, v28
	v_fma_f32 v28, v119, v29, -v28
	v_mul_f32_e32 v29, v122, v31
	v_fmac_f32_e32 v29, v121, v30
	v_mul_f32_e32 v30, v122, v30
	v_fma_f32 v30, v121, v31, -v30
	s_waitcnt lgkmcnt(4)
	v_mul_f32_e32 v31, v124, v25
	v_fmac_f32_e32 v31, v123, v24
	v_mul_f32_e32 v24, v124, v24
	v_fma_f32 v24, v123, v25, -v24
	v_mul_f32_e32 v25, v126, v27
	v_fmac_f32_e32 v25, v125, v26
	v_mul_f32_e32 v26, v126, v26
	v_fma_f32 v26, v125, v27, -v26
	s_waitcnt lgkmcnt(2)
	v_mul_f32_e32 v27, v128, v21
	s_waitcnt lgkmcnt(0)
	v_mul_f32_e32 v43, v132, v17
	v_fmac_f32_e32 v27, v127, v20
	v_mul_f32_e32 v20, v128, v20
	v_fmac_f32_e32 v43, v131, v16
	v_mul_f32_e32 v16, v132, v16
	v_fma_f32 v40, v127, v21, -v20
	v_mul_f32_e32 v41, v130, v23
	v_mul_f32_e32 v20, v130, v22
	v_fma_f32 v44, v131, v17, -v16
	v_mul_f32_e32 v45, v134, v19
	v_mul_f32_e32 v16, v134, v18
	v_fmac_f32_e32 v41, v129, v22
	v_fma_f32 v42, v129, v23, -v20
	v_fmac_f32_e32 v45, v133, v18
	v_fma_f32 v46, v133, v19, -v16
	v_sub_f32_e32 v16, v12, v39
	v_sub_f32_e32 v17, v13, v28
	v_fma_f32 v12, v12, 2.0, -v16
	v_fma_f32 v13, v13, 2.0, -v17
	v_sub_f32_e32 v18, v14, v29
	v_sub_f32_e32 v19, v15, v30
	v_sub_f32_e32 v20, v8, v31
	v_sub_f32_e32 v21, v9, v24
	v_sub_f32_e32 v22, v10, v25
	v_sub_f32_e32 v23, v11, v26
	v_sub_f32_e32 v24, v4, v27
	v_sub_f32_e32 v25, v5, v40
	v_sub_f32_e32 v26, v6, v41
	v_sub_f32_e32 v27, v7, v42
	v_sub_f32_e32 v28, v0, v43
	v_sub_f32_e32 v29, v1, v44
	v_sub_f32_e32 v30, v2, v45
	v_sub_f32_e32 v31, v3, v46
	v_fma_f32 v14, v14, 2.0, -v18
	v_fma_f32 v15, v15, 2.0, -v19
	;; [unrolled: 1-line block ×14, first 2 shown]
	ds_write_b64 v141, v[12:13]
	ds_write_b64 v156, v[16:17] offset:4624
	ds_write_b64 v141, v[14:15] offset:544
	;; [unrolled: 1-line block ×12, first 2 shown]
	ds_write2_b64 v36, v[0:1], v[2:3] offset0:152 offset1:220
	ds_write_b64 v37, v[30:31] offset:4624
	s_and_saveexec_b64 s[2:3], s[0:1]
	s_cbranch_execz .LBB0_17
; %bb.16:
	v_mul_f32_e32 v0, v118, v32
	v_fma_f32 v0, v117, v33, -v0
	v_sub_f32_e32 v1, v35, v0
	v_mul_f32_e32 v0, v118, v33
	v_fmac_f32_e32 v0, v117, v32
	v_sub_f32_e32 v0, v34, v0
	v_fma_f32 v3, v35, 2.0, -v1
	v_fma_f32 v2, v34, 2.0, -v0
	ds_write_b64 v141, v[2:3] offset:4352
	ds_write_b64 v156, v[0:1] offset:8976
.LBB0_17:
	s_or_b64 exec, exec, s[2:3]
	s_waitcnt lgkmcnt(0)
	s_barrier
	ds_read2_b64 v[0:3], v141 offset1:68
	v_mad_u64_u32 v[4:5], s[0:1], s6, v80, 0
	s_mov_b32 s0, 0xd10d4986
	s_mov_b32 s1, 0x3f4c5894
	s_waitcnt lgkmcnt(0)
	v_mul_f32_e32 v6, v98, v1
	v_fmac_f32_e32 v6, v97, v0
	v_cvt_f64_f32_e32 v[6:7], v6
	v_mul_f32_e32 v0, v98, v0
	v_fma_f32 v0, v97, v1, -v0
	v_cvt_f64_f32_e32 v[0:1], v0
	v_mul_f64 v[6:7], v[6:7], s[0:1]
	v_mad_u64_u32 v[8:9], s[2:3], s4, v142, 0
	v_mul_f64 v[0:1], v[0:1], s[0:1]
	v_add_u32_e32 v13, 0x800, v141
	v_mad_u64_u32 v[10:11], s[2:3], s7, v80, v[5:6]
	v_mov_b32_e32 v5, v9
	v_mad_u64_u32 v[11:12], s[2:3], s5, v142, v[5:6]
	v_mov_b32_e32 v5, v10
	v_cvt_f32_f64_e32 v6, v[6:7]
	v_cvt_f32_f64_e32 v7, v[0:1]
	v_lshlrev_b64 v[0:1], 3, v[4:5]
	v_mul_f32_e32 v4, v96, v3
	v_fmac_f32_e32 v4, v95, v2
	v_mul_f32_e32 v2, v96, v2
	v_fma_f32 v2, v95, v3, -v2
	v_mov_b32_e32 v9, v11
	v_mov_b32_e32 v10, s17
	v_cvt_f64_f32_e32 v[2:3], v2
	v_add_co_u32_e32 v11, vcc, s16, v0
	v_addc_co_u32_e32 v12, vcc, v10, v1, vcc
	v_lshlrev_b64 v[0:1], 3, v[8:9]
	v_mul_f64 v[8:9], v[2:3], s[0:1]
	v_add_co_u32_e32 v10, vcc, v11, v0
	v_addc_co_u32_e32 v11, vcc, v12, v1, vcc
	ds_read2_b64 v[0:3], v141 offset0:136 offset1:204
	v_cvt_f64_f32_e32 v[4:5], v4
	global_store_dwordx2 v[10:11], v[6:7], off
	s_mul_i32 s2, s5, 0x220
	s_mul_hi_u32 s3, s4, 0x220
	s_waitcnt lgkmcnt(0)
	v_mul_f32_e32 v6, v92, v1
	v_fmac_f32_e32 v6, v91, v0
	v_mul_f32_e32 v0, v92, v0
	v_fma_f32 v0, v91, v1, -v0
	v_mul_f64 v[4:5], v[4:5], s[0:1]
	v_cvt_f64_f32_e32 v[0:1], v0
	v_cvt_f64_f32_e32 v[6:7], v6
	s_add_i32 s2, s3, s2
	s_mul_i32 s3, s4, 0x220
	v_mul_f64 v[0:1], v[0:1], s[0:1]
	v_mul_f64 v[6:7], v[6:7], s[0:1]
	v_mov_b32_e32 v12, s2
	v_cvt_f32_f64_e32 v4, v[4:5]
	v_cvt_f32_f64_e32 v5, v[8:9]
	v_mov_b32_e32 v9, s2
	v_add_co_u32_e32 v8, vcc, s3, v10
	v_addc_co_u32_e32 v9, vcc, v11, v9, vcc
	global_store_dwordx2 v[8:9], v[4:5], off
	v_cvt_f32_f64_e32 v5, v[0:1]
	v_mul_f32_e32 v0, v86, v3
	v_fmac_f32_e32 v0, v85, v2
	v_cvt_f32_f64_e32 v4, v[6:7]
	v_cvt_f64_f32_e32 v[6:7], v0
	v_mul_f32_e32 v0, v86, v2
	v_fma_f32 v0, v85, v3, -v0
	v_cvt_f64_f32_e32 v[10:11], v0
	ds_read2_b64 v[0:3], v13 offset0:16 offset1:84
	v_add_co_u32_e32 v8, vcc, s3, v8
	v_addc_co_u32_e32 v9, vcc, v9, v12, vcc
	global_store_dwordx2 v[8:9], v[4:5], off
	v_mul_f64 v[4:5], v[6:7], s[0:1]
	v_mul_f64 v[6:7], v[10:11], s[0:1]
	s_waitcnt lgkmcnt(0)
	v_mul_f32_e32 v10, v94, v1
	v_fmac_f32_e32 v10, v93, v0
	v_mul_f32_e32 v0, v94, v0
	v_fma_f32 v0, v93, v1, -v0
	v_cvt_f64_f32_e32 v[0:1], v0
	v_cvt_f64_f32_e32 v[10:11], v10
	v_cvt_f32_f64_e32 v4, v[4:5]
	v_cvt_f32_f64_e32 v5, v[6:7]
	v_mul_f64 v[0:1], v[0:1], s[0:1]
	v_mul_f64 v[6:7], v[10:11], s[0:1]
	v_mov_b32_e32 v10, s2
	v_add_co_u32_e32 v8, vcc, s3, v8
	v_addc_co_u32_e32 v9, vcc, v9, v10, vcc
	global_store_dwordx2 v[8:9], v[4:5], off
	v_cvt_f32_f64_e32 v5, v[0:1]
	v_mul_f32_e32 v0, v90, v3
	v_fmac_f32_e32 v0, v89, v2
	v_cvt_f32_f64_e32 v4, v[6:7]
	v_cvt_f64_f32_e32 v[6:7], v0
	v_mul_f32_e32 v0, v90, v2
	v_fma_f32 v0, v89, v3, -v0
	v_cvt_f64_f32_e32 v[10:11], v0
	ds_read2_b64 v[0:3], v13 offset0:152 offset1:220
	v_add_co_u32_e32 v8, vcc, s3, v8
	v_addc_co_u32_e32 v9, vcc, v9, v12, vcc
	global_store_dwordx2 v[8:9], v[4:5], off
	v_mul_f64 v[4:5], v[6:7], s[0:1]
	v_mul_f64 v[6:7], v[10:11], s[0:1]
	s_waitcnt lgkmcnt(0)
	v_mul_f32_e32 v10, v84, v1
	v_fmac_f32_e32 v10, v83, v0
	v_mul_f32_e32 v0, v84, v0
	v_fma_f32 v0, v83, v1, -v0
	v_cvt_f64_f32_e32 v[0:1], v0
	v_cvt_f64_f32_e32 v[10:11], v10
	v_cvt_f32_f64_e32 v4, v[4:5]
	v_cvt_f32_f64_e32 v5, v[6:7]
	v_mul_f64 v[0:1], v[0:1], s[0:1]
	v_mul_f64 v[6:7], v[10:11], s[0:1]
	v_mov_b32_e32 v10, s2
	v_add_co_u32_e32 v8, vcc, s3, v8
	v_addc_co_u32_e32 v9, vcc, v9, v10, vcc
	global_store_dwordx2 v[8:9], v[4:5], off
	v_cvt_f32_f64_e32 v5, v[0:1]
	v_mul_f32_e32 v0, v79, v3
	v_fmac_f32_e32 v0, v78, v2
	v_cvt_f32_f64_e32 v4, v[6:7]
	v_cvt_f64_f32_e32 v[6:7], v0
	v_mul_f32_e32 v0, v79, v2
	v_fma_f32 v0, v78, v3, -v0
	v_add_u32_e32 v13, 0x1000, v141
	v_cvt_f64_f32_e32 v[10:11], v0
	ds_read2_b64 v[0:3], v13 offset0:32 offset1:100
	v_add_co_u32_e32 v8, vcc, s3, v8
	v_addc_co_u32_e32 v9, vcc, v9, v12, vcc
	global_store_dwordx2 v[8:9], v[4:5], off
	v_mul_f64 v[4:5], v[6:7], s[0:1]
	v_mul_f64 v[6:7], v[10:11], s[0:1]
	s_waitcnt lgkmcnt(0)
	v_mul_f32_e32 v10, v88, v1
	v_fmac_f32_e32 v10, v87, v0
	v_mul_f32_e32 v0, v88, v0
	v_fma_f32 v0, v87, v1, -v0
	v_cvt_f64_f32_e32 v[0:1], v0
	v_cvt_f64_f32_e32 v[10:11], v10
	v_cvt_f32_f64_e32 v4, v[4:5]
	v_cvt_f32_f64_e32 v5, v[6:7]
	v_mul_f64 v[0:1], v[0:1], s[0:1]
	v_mul_f64 v[6:7], v[10:11], s[0:1]
	v_mov_b32_e32 v10, s2
	v_add_co_u32_e32 v8, vcc, s3, v8
	v_addc_co_u32_e32 v9, vcc, v9, v10, vcc
	global_store_dwordx2 v[8:9], v[4:5], off
	v_cvt_f32_f64_e32 v5, v[0:1]
	v_mul_f32_e32 v0, v82, v3
	v_fmac_f32_e32 v0, v81, v2
	v_cvt_f32_f64_e32 v4, v[6:7]
	v_cvt_f64_f32_e32 v[6:7], v0
	v_mul_f32_e32 v0, v82, v2
	v_fma_f32 v0, v81, v3, -v0
	v_cvt_f64_f32_e32 v[10:11], v0
	ds_read2_b64 v[0:3], v13 offset0:168 offset1:236
	v_add_co_u32_e32 v8, vcc, s3, v8
	v_addc_co_u32_e32 v9, vcc, v9, v12, vcc
	global_store_dwordx2 v[8:9], v[4:5], off
	v_mul_f64 v[4:5], v[6:7], s[0:1]
	v_mul_f64 v[6:7], v[10:11], s[0:1]
	s_waitcnt lgkmcnt(0)
	v_mul_f32_e32 v10, v77, v1
	v_fmac_f32_e32 v10, v76, v0
	v_mul_f32_e32 v0, v77, v0
	v_fma_f32 v0, v76, v1, -v0
	v_cvt_f64_f32_e32 v[0:1], v0
	v_cvt_f64_f32_e32 v[10:11], v10
	v_cvt_f32_f64_e32 v4, v[4:5]
	v_cvt_f32_f64_e32 v5, v[6:7]
	v_mul_f64 v[0:1], v[0:1], s[0:1]
	v_mul_f64 v[6:7], v[10:11], s[0:1]
	v_mov_b32_e32 v10, s2
	v_add_co_u32_e32 v8, vcc, s3, v8
	v_addc_co_u32_e32 v9, vcc, v9, v10, vcc
	global_store_dwordx2 v[8:9], v[4:5], off
	v_cvt_f32_f64_e32 v5, v[0:1]
	v_mul_f32_e32 v0, v73, v3
	v_fmac_f32_e32 v0, v72, v2
	v_cvt_f32_f64_e32 v4, v[6:7]
	v_cvt_f64_f32_e32 v[6:7], v0
	v_mul_f32_e32 v0, v73, v2
	v_fma_f32 v0, v72, v3, -v0
	v_add_u32_e32 v13, 0x1800, v141
	v_cvt_f64_f32_e32 v[10:11], v0
	ds_read2_b64 v[0:3], v13 offset0:48 offset1:116
	v_add_co_u32_e32 v8, vcc, s3, v8
	v_addc_co_u32_e32 v9, vcc, v9, v12, vcc
	global_store_dwordx2 v[8:9], v[4:5], off
	v_mul_f64 v[4:5], v[6:7], s[0:1]
	v_mul_f64 v[6:7], v[10:11], s[0:1]
	s_waitcnt lgkmcnt(0)
	v_mul_f32_e32 v10, v71, v1
	v_fmac_f32_e32 v10, v70, v0
	v_mul_f32_e32 v0, v71, v0
	v_fma_f32 v0, v70, v1, -v0
	v_cvt_f64_f32_e32 v[0:1], v0
	v_cvt_f64_f32_e32 v[10:11], v10
	v_cvt_f32_f64_e32 v4, v[4:5]
	v_cvt_f32_f64_e32 v5, v[6:7]
	v_mul_f64 v[0:1], v[0:1], s[0:1]
	v_mul_f64 v[6:7], v[10:11], s[0:1]
	v_mov_b32_e32 v10, s2
	v_add_co_u32_e32 v8, vcc, s3, v8
	v_addc_co_u32_e32 v9, vcc, v9, v10, vcc
	global_store_dwordx2 v[8:9], v[4:5], off
	v_cvt_f32_f64_e32 v5, v[0:1]
	v_mul_f32_e32 v0, v75, v3
	v_fmac_f32_e32 v0, v74, v2
	v_cvt_f32_f64_e32 v4, v[6:7]
	v_cvt_f64_f32_e32 v[6:7], v0
	v_mul_f32_e32 v0, v75, v2
	v_fma_f32 v0, v74, v3, -v0
	v_cvt_f64_f32_e32 v[10:11], v0
	ds_read2_b64 v[0:3], v13 offset0:184 offset1:252
	v_add_co_u32_e32 v8, vcc, s3, v8
	v_addc_co_u32_e32 v9, vcc, v9, v12, vcc
	global_store_dwordx2 v[8:9], v[4:5], off
	v_mul_f64 v[4:5], v[6:7], s[0:1]
	v_mul_f64 v[6:7], v[10:11], s[0:1]
	s_waitcnt lgkmcnt(0)
	v_mul_f32_e32 v10, v69, v1
	v_fmac_f32_e32 v10, v68, v0
	v_mul_f32_e32 v0, v69, v0
	v_fma_f32 v0, v68, v1, -v0
	v_cvt_f64_f32_e32 v[0:1], v0
	v_cvt_f64_f32_e32 v[10:11], v10
	v_cvt_f32_f64_e32 v4, v[4:5]
	v_cvt_f32_f64_e32 v5, v[6:7]
	v_mul_f64 v[0:1], v[0:1], s[0:1]
	v_mul_f64 v[6:7], v[10:11], s[0:1]
	v_mov_b32_e32 v10, s2
	v_add_co_u32_e32 v8, vcc, s3, v8
	v_addc_co_u32_e32 v9, vcc, v9, v10, vcc
	global_store_dwordx2 v[8:9], v[4:5], off
	v_cvt_f32_f64_e32 v5, v[0:1]
	v_mul_f32_e32 v0, v67, v3
	v_fmac_f32_e32 v0, v66, v2
	v_mul_f32_e32 v2, v67, v2
	v_fma_f32 v2, v66, v3, -v2
	v_cvt_f32_f64_e32 v4, v[6:7]
	v_cvt_f64_f32_e32 v[0:1], v0
	v_cvt_f64_f32_e32 v[2:3], v2
	ds_read_b64 v[6:7], v141 offset:8704
	v_add_co_u32_e32 v8, vcc, s3, v8
	v_addc_co_u32_e32 v9, vcc, v9, v10, vcc
	v_mul_f64 v[0:1], v[0:1], s[0:1]
	v_mul_f64 v[2:3], v[2:3], s[0:1]
	global_store_dwordx2 v[8:9], v[4:5], off
	s_waitcnt lgkmcnt(0)
	v_mul_f32_e32 v4, v65, v7
	v_fmac_f32_e32 v4, v64, v6
	v_mul_f32_e32 v6, v65, v6
	v_fma_f32 v6, v64, v7, -v6
	v_cvt_f64_f32_e32 v[4:5], v4
	v_cvt_f64_f32_e32 v[6:7], v6
	v_cvt_f32_f64_e32 v0, v[0:1]
	v_cvt_f32_f64_e32 v1, v[2:3]
	v_mul_f64 v[2:3], v[4:5], s[0:1]
	v_mul_f64 v[4:5], v[6:7], s[0:1]
	v_mov_b32_e32 v7, s2
	v_add_co_u32_e32 v6, vcc, s3, v8
	v_addc_co_u32_e32 v7, vcc, v9, v7, vcc
	global_store_dwordx2 v[6:7], v[0:1], off
	v_cvt_f32_f64_e32 v0, v[2:3]
	v_cvt_f32_f64_e32 v1, v[4:5]
	v_mov_b32_e32 v3, s2
	v_add_co_u32_e32 v2, vcc, s3, v6
	v_addc_co_u32_e32 v3, vcc, v7, v3, vcc
	global_store_dwordx2 v[2:3], v[0:1], off
.LBB0_18:
	s_endpgm
	.section	.rodata,"a",@progbits
	.p2align	6, 0x0
	.amdhsa_kernel bluestein_single_back_len1156_dim1_sp_op_CI_CI
		.amdhsa_group_segment_fixed_size 27744
		.amdhsa_private_segment_fixed_size 0
		.amdhsa_kernarg_size 104
		.amdhsa_user_sgpr_count 6
		.amdhsa_user_sgpr_private_segment_buffer 1
		.amdhsa_user_sgpr_dispatch_ptr 0
		.amdhsa_user_sgpr_queue_ptr 0
		.amdhsa_user_sgpr_kernarg_segment_ptr 1
		.amdhsa_user_sgpr_dispatch_id 0
		.amdhsa_user_sgpr_flat_scratch_init 0
		.amdhsa_user_sgpr_private_segment_size 0
		.amdhsa_uses_dynamic_stack 0
		.amdhsa_system_sgpr_private_segment_wavefront_offset 0
		.amdhsa_system_sgpr_workgroup_id_x 1
		.amdhsa_system_sgpr_workgroup_id_y 0
		.amdhsa_system_sgpr_workgroup_id_z 0
		.amdhsa_system_sgpr_workgroup_info 0
		.amdhsa_system_vgpr_workitem_id 0
		.amdhsa_next_free_vgpr 189
		.amdhsa_next_free_sgpr 24
		.amdhsa_reserve_vcc 1
		.amdhsa_reserve_flat_scratch 0
		.amdhsa_float_round_mode_32 0
		.amdhsa_float_round_mode_16_64 0
		.amdhsa_float_denorm_mode_32 3
		.amdhsa_float_denorm_mode_16_64 3
		.amdhsa_dx10_clamp 1
		.amdhsa_ieee_mode 1
		.amdhsa_fp16_overflow 0
		.amdhsa_exception_fp_ieee_invalid_op 0
		.amdhsa_exception_fp_denorm_src 0
		.amdhsa_exception_fp_ieee_div_zero 0
		.amdhsa_exception_fp_ieee_overflow 0
		.amdhsa_exception_fp_ieee_underflow 0
		.amdhsa_exception_fp_ieee_inexact 0
		.amdhsa_exception_int_div_zero 0
	.end_amdhsa_kernel
	.text
.Lfunc_end0:
	.size	bluestein_single_back_len1156_dim1_sp_op_CI_CI, .Lfunc_end0-bluestein_single_back_len1156_dim1_sp_op_CI_CI
                                        ; -- End function
	.section	.AMDGPU.csdata,"",@progbits
; Kernel info:
; codeLenInByte = 27568
; NumSgprs: 28
; NumVgprs: 189
; ScratchSize: 0
; MemoryBound: 0
; FloatMode: 240
; IeeeMode: 1
; LDSByteSize: 27744 bytes/workgroup (compile time only)
; SGPRBlocks: 3
; VGPRBlocks: 47
; NumSGPRsForWavesPerEU: 28
; NumVGPRsForWavesPerEU: 189
; Occupancy: 1
; WaveLimiterHint : 1
; COMPUTE_PGM_RSRC2:SCRATCH_EN: 0
; COMPUTE_PGM_RSRC2:USER_SGPR: 6
; COMPUTE_PGM_RSRC2:TRAP_HANDLER: 0
; COMPUTE_PGM_RSRC2:TGID_X_EN: 1
; COMPUTE_PGM_RSRC2:TGID_Y_EN: 0
; COMPUTE_PGM_RSRC2:TGID_Z_EN: 0
; COMPUTE_PGM_RSRC2:TIDIG_COMP_CNT: 0
	.type	__hip_cuid_933742210c668a35,@object ; @__hip_cuid_933742210c668a35
	.section	.bss,"aw",@nobits
	.globl	__hip_cuid_933742210c668a35
__hip_cuid_933742210c668a35:
	.byte	0                               ; 0x0
	.size	__hip_cuid_933742210c668a35, 1

	.ident	"AMD clang version 19.0.0git (https://github.com/RadeonOpenCompute/llvm-project roc-6.4.0 25133 c7fe45cf4b819c5991fe208aaa96edf142730f1d)"
	.section	".note.GNU-stack","",@progbits
	.addrsig
	.addrsig_sym __hip_cuid_933742210c668a35
	.amdgpu_metadata
---
amdhsa.kernels:
  - .args:
      - .actual_access:  read_only
        .address_space:  global
        .offset:         0
        .size:           8
        .value_kind:     global_buffer
      - .actual_access:  read_only
        .address_space:  global
        .offset:         8
        .size:           8
        .value_kind:     global_buffer
      - .actual_access:  read_only
        .address_space:  global
        .offset:         16
        .size:           8
        .value_kind:     global_buffer
      - .actual_access:  read_only
        .address_space:  global
        .offset:         24
        .size:           8
        .value_kind:     global_buffer
      - .actual_access:  read_only
        .address_space:  global
        .offset:         32
        .size:           8
        .value_kind:     global_buffer
      - .offset:         40
        .size:           8
        .value_kind:     by_value
      - .address_space:  global
        .offset:         48
        .size:           8
        .value_kind:     global_buffer
      - .address_space:  global
        .offset:         56
        .size:           8
        .value_kind:     global_buffer
      - .address_space:  global
        .offset:         64
        .size:           8
        .value_kind:     global_buffer
      - .address_space:  global
        .offset:         72
        .size:           8
        .value_kind:     global_buffer
      - .offset:         80
        .size:           4
        .value_kind:     by_value
      - .address_space:  global
        .offset:         88
        .size:           8
        .value_kind:     global_buffer
      - .address_space:  global
        .offset:         96
        .size:           8
        .value_kind:     global_buffer
    .group_segment_fixed_size: 27744
    .kernarg_segment_align: 8
    .kernarg_segment_size: 104
    .language:       OpenCL C
    .language_version:
      - 2
      - 0
    .max_flat_workgroup_size: 204
    .name:           bluestein_single_back_len1156_dim1_sp_op_CI_CI
    .private_segment_fixed_size: 0
    .sgpr_count:     28
    .sgpr_spill_count: 0
    .symbol:         bluestein_single_back_len1156_dim1_sp_op_CI_CI.kd
    .uniform_work_group_size: 1
    .uses_dynamic_stack: false
    .vgpr_count:     189
    .vgpr_spill_count: 0
    .wavefront_size: 64
amdhsa.target:   amdgcn-amd-amdhsa--gfx906
amdhsa.version:
  - 1
  - 2
...

	.end_amdgpu_metadata
